;; amdgpu-corpus repo=ROCm/rocFFT kind=compiled arch=gfx906 opt=O3
	.text
	.amdgcn_target "amdgcn-amd-amdhsa--gfx906"
	.amdhsa_code_object_version 6
	.protected	bluestein_single_back_len374_dim1_sp_op_CI_CI ; -- Begin function bluestein_single_back_len374_dim1_sp_op_CI_CI
	.globl	bluestein_single_back_len374_dim1_sp_op_CI_CI
	.p2align	8
	.type	bluestein_single_back_len374_dim1_sp_op_CI_CI,@function
bluestein_single_back_len374_dim1_sp_op_CI_CI: ; @bluestein_single_back_len374_dim1_sp_op_CI_CI
; %bb.0:
	v_mul_u32_u24_e32 v1, 0x788, v0
	s_load_dwordx4 s[0:3], s[4:5], 0x28
	v_lshrrev_b32_e32 v1, 16, v1
	v_mad_u64_u32 v[48:49], s[6:7], s6, 7, v[1:2]
	v_mov_b32_e32 v49, 0
	s_waitcnt lgkmcnt(0)
	v_cmp_gt_u64_e32 vcc, s[0:1], v[48:49]
	s_and_saveexec_b64 s[0:1], vcc
	s_cbranch_execz .LBB0_23
; %bb.1:
	s_mov_b32 s0, 0x24924925
	v_mul_hi_u32 v2, v48, s0
	s_load_dwordx2 s[12:13], s[4:5], 0x0
	s_load_dwordx2 s[14:15], s[4:5], 0x38
	v_mul_lo_u16_e32 v1, 34, v1
	v_sub_u16_e32 v81, v0, v1
	v_sub_u32_e32 v3, v48, v2
	v_lshrrev_b32_e32 v3, 1, v3
	v_add_u32_e32 v2, v3, v2
	v_lshrrev_b32_e32 v2, 2, v2
	v_mul_lo_u32 v2, v2, 7
	v_cmp_gt_u16_e64 s[0:1], 22, v81
	v_lshlrev_b32_e32 v82, 3, v81
	v_sub_u32_e32 v0, v48, v2
	v_mul_u32_u24_e32 v42, 0x176, v0
	v_lshlrev_b32_e32 v210, 3, v42
	s_and_saveexec_b64 s[6:7], s[0:1]
	s_cbranch_execz .LBB0_3
; %bb.2:
	s_load_dwordx2 s[8:9], s[4:5], 0x18
	v_or_b32_e32 v65, 0x160, v81
	s_waitcnt lgkmcnt(0)
	s_load_dwordx4 s[8:11], s[8:9], 0x0
	s_waitcnt lgkmcnt(0)
	v_mad_u64_u32 v[0:1], s[16:17], s10, v48, 0
	v_mad_u64_u32 v[2:3], s[16:17], s8, v81, 0
	;; [unrolled: 1-line block ×5, first 2 shown]
	v_mov_b32_e32 v1, v4
	v_lshlrev_b64 v[0:1], 3, v[0:1]
	v_mov_b32_e32 v3, v5
	v_mov_b32_e32 v6, s3
	v_lshlrev_b64 v[2:3], 3, v[2:3]
	v_add_co_u32_e32 v72, vcc, s2, v0
	v_addc_co_u32_e32 v73, vcc, v6, v1, vcc
	v_add_co_u32_e32 v0, vcc, v72, v2
	s_mul_i32 s2, s9, 0xb0
	s_mul_hi_u32 s3, s8, 0xb0
	v_addc_co_u32_e32 v1, vcc, v73, v3, vcc
	s_add_i32 s3, s3, s2
	s_mul_i32 s2, s8, 0xb0
	v_mov_b32_e32 v3, s3
	v_add_co_u32_e32 v2, vcc, s2, v0
	v_addc_co_u32_e32 v3, vcc, v1, v3, vcc
	v_mov_b32_e32 v5, s3
	v_add_co_u32_e32 v4, vcc, s2, v2
	v_addc_co_u32_e32 v5, vcc, v3, v5, vcc
	;; [unrolled: 3-line block ×3, first 2 shown]
	global_load_dwordx2 v[8:9], v[0:1], off
	global_load_dwordx2 v[10:11], v[2:3], off
	;; [unrolled: 1-line block ×4, first 2 shown]
	global_load_dwordx2 v[16:17], v82, s[12:13]
	global_load_dwordx2 v[18:19], v82, s[12:13] offset:176
	global_load_dwordx2 v[20:21], v82, s[12:13] offset:352
	;; [unrolled: 1-line block ×3, first 2 shown]
	v_mov_b32_e32 v1, s3
	v_add_co_u32_e32 v0, vcc, s2, v6
	v_addc_co_u32_e32 v1, vcc, v7, v1, vcc
	global_load_dwordx2 v[2:3], v[0:1], off
	v_mov_b32_e32 v4, s3
	v_add_co_u32_e32 v0, vcc, s2, v0
	v_addc_co_u32_e32 v1, vcc, v1, v4, vcc
	global_load_dwordx2 v[4:5], v[0:1], off
	;; [unrolled: 4-line block ×4, first 2 shown]
	global_load_dwordx2 v[26:27], v82, s[12:13] offset:704
	global_load_dwordx2 v[28:29], v82, s[12:13] offset:880
	;; [unrolled: 1-line block ×4, first 2 shown]
	v_mov_b32_e32 v34, s3
	v_add_co_u32_e32 v0, vcc, s2, v0
	v_addc_co_u32_e32 v1, vcc, v1, v34, vcc
	global_load_dwordx2 v[34:35], v[0:1], off
	v_mov_b32_e32 v36, s3
	v_add_co_u32_e32 v0, vcc, s2, v0
	v_addc_co_u32_e32 v1, vcc, v1, v36, vcc
	global_load_dwordx2 v[36:37], v[0:1], off
	v_mov_b32_e32 v38, s3
	v_add_co_u32_e32 v0, vcc, s2, v0
	v_addc_co_u32_e32 v1, vcc, v1, v38, vcc
	global_load_dwordx2 v[38:39], v[0:1], off
	v_mov_b32_e32 v40, s3
	v_add_co_u32_e32 v0, vcc, s2, v0
	v_addc_co_u32_e32 v1, vcc, v1, v40, vcc
	global_load_dwordx2 v[40:41], v[0:1], off
	global_load_dwordx2 v[43:44], v82, s[12:13] offset:1408
	global_load_dwordx2 v[45:46], v82, s[12:13] offset:1584
	;; [unrolled: 1-line block ×4, first 2 shown]
	v_mov_b32_e32 v47, s3
	v_add_co_u32_e32 v0, vcc, s2, v0
	v_addc_co_u32_e32 v1, vcc, v1, v47, vcc
	global_load_dwordx2 v[53:54], v[0:1], off
	global_load_dwordx2 v[55:56], v82, s[12:13] offset:2112
	v_add_co_u32_e32 v0, vcc, s2, v0
	v_addc_co_u32_e32 v1, vcc, v1, v47, vcc
	global_load_dwordx2 v[57:58], v[0:1], off
	v_add_co_u32_e32 v0, vcc, s2, v0
	v_addc_co_u32_e32 v1, vcc, v1, v47, vcc
	global_load_dwordx2 v[59:60], v[0:1], off
	v_add_co_u32_e32 v0, vcc, s2, v0
	v_addc_co_u32_e32 v1, vcc, v1, v47, vcc
	v_mov_b32_e32 v47, v62
	v_mad_u64_u32 v[65:66], s[2:3], s9, v65, v[47:48]
	global_load_dwordx2 v[63:64], v82, s[12:13] offset:2288
	global_load_dwordx2 v[66:67], v82, s[12:13] offset:2464
	global_load_dwordx2 v[68:69], v[0:1], off
	global_load_dwordx2 v[70:71], v82, s[12:13] offset:2640
	v_mov_b32_e32 v62, v65
	v_lshlrev_b64 v[0:1], 3, v[61:62]
	v_lshl_add_u32 v47, v81, 3, v210
	v_add_co_u32_e32 v0, vcc, v72, v0
	v_addc_co_u32_e32 v1, vcc, v73, v1, vcc
	global_load_dwordx2 v[61:62], v[0:1], off
	global_load_dwordx2 v[72:73], v82, s[12:13] offset:2816
	s_waitcnt vmcnt(29)
	v_mul_f32_e32 v0, v9, v17
	v_mul_f32_e32 v1, v8, v17
	v_fmac_f32_e32 v0, v8, v16
	v_fma_f32 v1, v9, v16, -v1
	ds_write_b64 v47, v[0:1]
	s_waitcnt vmcnt(28)
	v_mul_f32_e32 v0, v11, v19
	v_mul_f32_e32 v1, v10, v19
	s_waitcnt vmcnt(27)
	v_mul_f32_e32 v8, v13, v21
	v_mul_f32_e32 v9, v12, v21
	v_fmac_f32_e32 v0, v10, v18
	v_add_u32_e32 v16, v210, v82
	v_fma_f32 v1, v11, v18, -v1
	v_fmac_f32_e32 v8, v12, v20
	v_fma_f32 v9, v13, v20, -v9
	ds_write2_b64 v16, v[0:1], v[8:9] offset0:22 offset1:44
	s_waitcnt vmcnt(26)
	v_mul_f32_e32 v0, v15, v23
	v_mul_f32_e32 v1, v14, v23
	v_fmac_f32_e32 v0, v14, v22
	v_fma_f32 v1, v15, v22, -v1
	s_waitcnt vmcnt(21)
	v_mul_f32_e32 v8, v3, v27
	v_fmac_f32_e32 v8, v2, v26
	v_mul_f32_e32 v2, v2, v27
	v_fma_f32 v9, v3, v26, -v2
	ds_write2_b64 v16, v[0:1], v[8:9] offset0:66 offset1:88
	s_waitcnt vmcnt(20)
	v_mul_f32_e32 v0, v5, v29
	v_mul_f32_e32 v1, v4, v29
	s_waitcnt vmcnt(19)
	v_mul_f32_e32 v2, v7, v31
	v_mul_f32_e32 v3, v6, v31
	v_fmac_f32_e32 v0, v4, v28
	v_fma_f32 v1, v5, v28, -v1
	v_fmac_f32_e32 v2, v6, v30
	v_fma_f32 v3, v7, v30, -v3
	ds_write2_b64 v16, v[0:1], v[2:3] offset0:110 offset1:132
	s_waitcnt vmcnt(18)
	v_mul_f32_e32 v0, v25, v33
	v_mul_f32_e32 v1, v24, v33
	v_fmac_f32_e32 v0, v24, v32
	v_fma_f32 v1, v25, v32, -v1
	v_add_u32_e32 v4, 0x400, v16
	s_waitcnt vmcnt(13)
	v_mul_f32_e32 v2, v35, v44
	v_mul_f32_e32 v3, v34, v44
	v_fmac_f32_e32 v2, v34, v43
	v_fma_f32 v3, v35, v43, -v3
	ds_write2_b64 v16, v[0:1], v[2:3] offset0:154 offset1:176
	s_waitcnt vmcnt(12)
	v_mul_f32_e32 v0, v37, v46
	v_mul_f32_e32 v1, v36, v46
	s_waitcnt vmcnt(11)
	v_mul_f32_e32 v2, v39, v50
	v_mul_f32_e32 v3, v38, v50
	v_fmac_f32_e32 v0, v36, v45
	v_fma_f32 v1, v37, v45, -v1
	v_fmac_f32_e32 v2, v38, v49
	v_fma_f32 v3, v39, v49, -v3
	ds_write2_b64 v16, v[0:1], v[2:3] offset0:198 offset1:220
	s_waitcnt vmcnt(10)
	v_mul_f32_e32 v0, v41, v52
	v_mul_f32_e32 v1, v40, v52
	s_waitcnt vmcnt(8)
	v_mul_f32_e32 v2, v54, v56
	v_mul_f32_e32 v3, v53, v56
	v_fmac_f32_e32 v0, v40, v51
	v_fma_f32 v1, v41, v51, -v1
	v_fmac_f32_e32 v2, v53, v55
	v_fma_f32 v3, v54, v55, -v3
	ds_write2_b64 v4, v[0:1], v[2:3] offset0:114 offset1:136
	v_add_u32_e32 v4, 0x800, v16
	s_waitcnt vmcnt(4)
	v_mul_f32_e32 v2, v60, v67
	v_mul_f32_e32 v0, v58, v64
	;; [unrolled: 1-line block ×4, first 2 shown]
	v_fmac_f32_e32 v0, v57, v63
	v_fma_f32 v1, v58, v63, -v1
	v_fmac_f32_e32 v2, v59, v66
	v_fma_f32 v3, v60, v66, -v3
	ds_write2_b64 v4, v[0:1], v[2:3] offset0:30 offset1:52
	s_waitcnt vmcnt(2)
	v_mul_f32_e32 v0, v69, v71
	v_mul_f32_e32 v1, v68, v71
	s_waitcnt vmcnt(0)
	v_mul_f32_e32 v2, v62, v73
	v_mul_f32_e32 v3, v61, v73
	v_fmac_f32_e32 v0, v68, v70
	v_fma_f32 v1, v69, v70, -v1
	v_fmac_f32_e32 v2, v61, v72
	v_fma_f32 v3, v62, v72, -v3
	ds_write2_b64 v4, v[0:1], v[2:3] offset0:74 offset1:96
.LBB0_3:
	s_or_b64 exec, exec, s[6:7]
	v_mov_b32_e32 v4, 0
	v_mov_b32_e32 v5, 0
	s_waitcnt lgkmcnt(0)
	s_barrier
	s_waitcnt lgkmcnt(0)
                                        ; implicit-def: $vgpr10
                                        ; implicit-def: $vgpr14
                                        ; implicit-def: $vgpr28
                                        ; implicit-def: $vgpr32
                                        ; implicit-def: $vgpr40
                                        ; implicit-def: $vgpr26
                                        ; implicit-def: $vgpr22
                                        ; implicit-def: $vgpr18
	s_and_saveexec_b64 s[2:3], s[0:1]
	s_cbranch_execz .LBB0_5
; %bb.4:
	v_lshl_add_u32 v0, v42, 3, v82
	ds_read2_b64 v[4:7], v0 offset1:22
	ds_read2_b64 v[16:19], v0 offset0:44 offset1:66
	ds_read2_b64 v[20:23], v0 offset0:88 offset1:110
	;; [unrolled: 1-line block ×5, first 2 shown]
	v_add_u32_e32 v1, 0x800, v0
	ds_read2_b64 v[28:31], v1 offset0:8 offset1:30
	ds_read2_b64 v[32:35], v1 offset0:52 offset1:74
	ds_read_b64 v[40:41], v0 offset:2816
.LBB0_5:
	s_or_b64 exec, exec, s[2:3]
	s_waitcnt lgkmcnt(0)
	v_sub_f32_e32 v77, v7, v41
	v_mul_f32_e32 v46, 0xbeb8f4ab, v77
	v_sub_f32_e32 v86, v17, v35
	v_add_f32_e32 v43, v40, v6
	v_sub_f32_e32 v80, v6, v40
	v_mov_b32_e32 v0, v46
	v_mul_f32_e32 v214, 0xbf2c7751, v86
	v_add_f32_e32 v44, v41, v7
	s_mov_b32 s10, 0x3f6eb680
	v_mul_f32_e32 v200, 0xbeb8f4ab, v80
	v_fmac_f32_e32 v0, 0x3f6eb680, v43
	v_add_f32_e32 v45, v34, v16
	v_sub_f32_e32 v88, v16, v34
	v_mov_b32_e32 v2, v214
	v_add_f32_e32 v0, v0, v4
	v_fma_f32 v1, v44, s10, -v200
	s_mov_b32 s11, 0x3f3d2fb0
	v_add_f32_e32 v47, v35, v17
	v_mul_f32_e32 v59, 0xbf2c7751, v88
	v_fmac_f32_e32 v2, 0x3f3d2fb0, v45
	v_sub_f32_e32 v90, v19, v33
	v_add_f32_e32 v1, v1, v5
	v_add_f32_e32 v0, v2, v0
	v_fma_f32 v2, v47, s11, -v59
	v_mul_f32_e32 v61, 0xbf65296c, v90
	v_add_f32_e32 v1, v2, v1
	v_add_f32_e32 v56, v32, v18
	v_sub_f32_e32 v94, v18, v32
	v_mov_b32_e32 v2, v61
	s_mov_b32 s16, 0x3ee437d1
	v_add_f32_e32 v58, v33, v19
	v_mul_f32_e32 v63, 0xbf65296c, v94
	v_fmac_f32_e32 v2, 0x3ee437d1, v56
	v_sub_f32_e32 v102, v21, v31
	v_add_f32_e32 v0, v2, v0
	v_fma_f32 v2, v58, s16, -v63
	v_mul_f32_e32 v65, 0xbf7ee86f, v102
	v_add_f32_e32 v1, v2, v1
	v_add_f32_e32 v60, v30, v20
	v_sub_f32_e32 v109, v20, v30
	v_mov_b32_e32 v2, v65
	s_mov_b32 s17, 0x3dbcf732
	v_add_f32_e32 v62, v31, v21
	v_mul_f32_e32 v67, 0xbf7ee86f, v109
	v_fmac_f32_e32 v2, 0x3dbcf732, v60
	v_sub_f32_e32 v110, v23, v29
	;; [unrolled: 12-line block ×5, first 2 shown]
	v_add_f32_e32 v0, v2, v0
	v_fma_f32 v2, v74, s20, -v85
	v_mul_f32_e32 v87, 0xbe3c28d5, v147
	v_add_f32_e32 v1, v2, v1
	v_add_f32_e32 v76, v10, v8
	v_mov_b32_e32 v2, v87
	v_sub_f32_e32 v149, v8, v10
	s_mov_b32 s21, 0xbf7ba420
	v_fmac_f32_e32 v2, 0xbf7ba420, v76
	v_add_f32_e32 v79, v11, v9
	v_mul_f32_e32 v89, 0xbe3c28d5, v149
	v_mul_f32_e32 v91, 0xbf2c7751, v77
	v_fma_f32 v3, v79, s21, -v89
	v_add_f32_e32 v2, v2, v0
	v_mov_b32_e32 v0, v91
	v_mul_f32_e32 v92, 0xbf7ee86f, v86
	v_add_f32_e32 v3, v3, v1
	v_fmac_f32_e32 v0, 0x3f3d2fb0, v43
	v_mov_b32_e32 v1, v92
	v_add_f32_e32 v0, v0, v4
	v_fmac_f32_e32 v1, 0x3dbcf732, v45
	v_mul_f32_e32 v97, 0xbf2c7751, v80
	v_add_f32_e32 v0, v1, v0
	v_fma_f32 v1, v44, s11, -v97
	v_mul_f32_e32 v98, 0xbf7ee86f, v88
	v_add_f32_e32 v1, v1, v5
	v_fma_f32 v36, v47, s17, -v98
	v_mul_f32_e32 v93, 0xbf4c4adb, v90
	v_add_f32_e32 v1, v36, v1
	v_mov_b32_e32 v36, v93
	v_fmac_f32_e32 v36, 0xbf1a4643, v56
	v_mul_f32_e32 v100, 0xbf4c4adb, v94
	v_add_f32_e32 v0, v36, v0
	v_fma_f32 v36, v58, s19, -v100
	v_mul_f32_e32 v95, 0xbe3c28d5, v102
	v_add_f32_e32 v1, v36, v1
	v_mov_b32_e32 v36, v95
	v_fmac_f32_e32 v36, 0xbf7ba420, v60
	v_mul_f32_e32 v103, 0xbe3c28d5, v109
	v_add_f32_e32 v0, v36, v0
	v_fma_f32 v36, v62, s21, -v103
	v_mul_f32_e32 v96, 0x3f06c442, v110
	v_add_f32_e32 v1, v36, v1
	v_mov_b32_e32 v36, v96
	v_fmac_f32_e32 v36, 0xbf59a7d5, v64
	v_mul_f32_e32 v105, 0x3f06c442, v116
	v_add_f32_e32 v0, v36, v0
	v_fma_f32 v36, v66, s20, -v105
	v_mul_f32_e32 v99, 0x3f763a35, v125
	v_add_f32_e32 v1, v36, v1
	v_mov_b32_e32 v36, v99
	v_fmac_f32_e32 v36, 0xbe8c1d8e, v68
	v_mul_f32_e32 v106, 0x3f763a35, v129
	v_add_f32_e32 v0, v36, v0
	v_fma_f32 v36, v70, s18, -v106
	v_mul_f32_e32 v101, 0x3f65296c, v132
	v_add_f32_e32 v1, v36, v1
	v_mov_b32_e32 v36, v101
	v_fmac_f32_e32 v36, 0x3ee437d1, v72
	v_mul_f32_e32 v107, 0x3f65296c, v140
	v_add_f32_e32 v0, v36, v0
	v_fma_f32 v36, v74, s16, -v107
	v_mul_f32_e32 v104, 0x3eb8f4ab, v147
	v_add_f32_e32 v1, v36, v1
	v_mov_b32_e32 v36, v104
	v_fmac_f32_e32 v36, 0x3f6eb680, v76
	v_mul_f32_e32 v108, 0x3eb8f4ab, v149
	v_add_f32_e32 v0, v36, v0
	v_fma_f32 v36, v79, s10, -v108
	v_mul_f32_e32 v111, 0xbf65296c, v77
	v_add_f32_e32 v1, v36, v1
	v_mov_b32_e32 v36, v111
	v_mul_f32_e32 v112, 0xbf4c4adb, v86
	v_fmac_f32_e32 v36, 0x3ee437d1, v43
	v_mov_b32_e32 v37, v112
	v_add_f32_e32 v36, v36, v4
	v_fmac_f32_e32 v37, 0xbf1a4643, v45
	v_mul_f32_e32 v117, 0xbf65296c, v80
	v_add_f32_e32 v36, v37, v36
	v_fma_f32 v37, v44, s16, -v117
	v_mul_f32_e32 v118, 0xbf4c4adb, v88
	v_add_f32_e32 v37, v37, v5
	v_fma_f32 v38, v47, s19, -v118
	v_mul_f32_e32 v113, 0x3e3c28d5, v90
	v_add_f32_e32 v37, v38, v37
	v_mov_b32_e32 v38, v113
	v_fmac_f32_e32 v38, 0xbf7ba420, v56
	v_mul_f32_e32 v120, 0x3e3c28d5, v94
	v_add_f32_e32 v36, v38, v36
	v_fma_f32 v38, v58, s21, -v120
	v_mul_f32_e32 v114, 0x3f763a35, v102
	v_add_f32_e32 v37, v38, v37
	v_mov_b32_e32 v38, v114
	v_fmac_f32_e32 v38, 0xbe8c1d8e, v60
	v_mul_f32_e32 v122, 0x3f763a35, v109
	v_add_f32_e32 v36, v38, v36
	v_fma_f32 v38, v62, s18, -v122
	v_mul_f32_e32 v115, 0x3f2c7751, v110
	v_add_f32_e32 v37, v38, v37
	v_mov_b32_e32 v38, v115
	v_fmac_f32_e32 v38, 0x3f3d2fb0, v64
	v_mul_f32_e32 v124, 0x3f2c7751, v116
	v_add_f32_e32 v36, v38, v36
	v_fma_f32 v38, v66, s11, -v124
	v_mul_f32_e32 v119, 0xbeb8f4ab, v125
	v_add_f32_e32 v37, v38, v37
	v_mov_b32_e32 v38, v119
	v_fmac_f32_e32 v38, 0x3f6eb680, v68
	v_mul_f32_e32 v126, 0xbeb8f4ab, v129
	v_add_f32_e32 v36, v38, v36
	v_fma_f32 v38, v70, s10, -v126
	v_mul_f32_e32 v121, 0xbf7ee86f, v132
	v_add_f32_e32 v37, v38, v37
	v_mov_b32_e32 v38, v121
	v_fmac_f32_e32 v38, 0x3dbcf732, v72
	v_mul_f32_e32 v127, 0xbf7ee86f, v140
	v_add_f32_e32 v36, v38, v36
	v_fma_f32 v38, v74, s17, -v127
	v_mul_f32_e32 v123, 0xbf06c442, v147
	v_add_f32_e32 v37, v38, v37
	v_mov_b32_e32 v38, v123
	v_fmac_f32_e32 v38, 0xbf59a7d5, v76
	v_mul_f32_e32 v128, 0xbf06c442, v149
	v_add_f32_e32 v49, v38, v36
	v_fma_f32 v36, v79, s20, -v128
	v_mul_f32_e32 v130, 0xbf7ee86f, v77
	v_add_f32_e32 v50, v36, v37
	v_mov_b32_e32 v36, v130
	v_mul_f32_e32 v131, 0xbe3c28d5, v86
	;; [unrolled: 56-line block ×4, first 2 shown]
	v_fmac_f32_e32 v36, 0xbf1a4643, v43
	v_mov_b32_e32 v37, v167
	v_add_f32_e32 v36, v36, v4
	v_fmac_f32_e32 v37, 0xbe8c1d8e, v45
	v_mul_f32_e32 v174, 0xbf4c4adb, v80
	v_add_f32_e32 v36, v37, v36
	v_fma_f32 v37, v44, s19, -v174
	v_mul_f32_e32 v175, 0x3f763a35, v88
	v_add_f32_e32 v37, v37, v5
	v_fma_f32 v38, v47, s18, -v175
	v_mul_f32_e32 v168, 0xbeb8f4ab, v90
	v_add_f32_e32 v37, v38, v37
	v_mov_b32_e32 v38, v168
	v_fmac_f32_e32 v38, 0x3f6eb680, v56
	v_mul_f32_e32 v176, 0xbeb8f4ab, v94
	v_add_f32_e32 v36, v38, v36
	v_fma_f32 v38, v58, s10, -v176
	v_mul_f32_e32 v169, 0xbf06c442, v102
	v_add_f32_e32 v37, v38, v37
	v_mov_b32_e32 v38, v169
	v_fmac_f32_e32 v38, 0xbf59a7d5, v60
	;; [unrolled: 7-line block ×6, first 2 shown]
	v_mul_f32_e32 v181, 0x3f65296c, v149
	v_mul_f32_e32 v182, 0xbf06c442, v77
	v_fma_f32 v39, v79, s16, -v181
	v_add_f32_e32 v38, v38, v36
	v_mov_b32_e32 v36, v182
	v_mul_f32_e32 v189, 0x3f65296c, v86
	v_add_f32_e32 v39, v39, v37
	v_fmac_f32_e32 v36, 0xbf59a7d5, v43
	v_mov_b32_e32 v37, v189
	v_add_f32_e32 v36, v36, v4
	v_fmac_f32_e32 v37, 0x3ee437d1, v45
	v_mul_f32_e32 v183, 0xbf7ee86f, v90
	v_add_f32_e32 v36, v37, v36
	v_mov_b32_e32 v37, v183
	v_fmac_f32_e32 v37, 0x3dbcf732, v56
	v_mul_f32_e32 v184, 0x3f4c4adb, v102
	v_add_f32_e32 v36, v37, v36
	v_mov_b32_e32 v37, v184
	;; [unrolled: 4-line block ×6, first 2 shown]
	v_fmac_f32_e32 v37, 0xbe8c1d8e, v76
	v_mul_f32_e32 v196, 0xbf06c442, v80
	v_add_f32_e32 v36, v37, v36
	v_fma_f32 v37, v44, s20, -v196
	v_mul_f32_e32 v197, 0x3f65296c, v88
	v_add_f32_e32 v37, v37, v5
	v_fma_f32 v84, v47, s16, -v197
	;; [unrolled: 3-line block ×5, first 2 shown]
	v_mul_f32_e32 v192, 0xbe3c28d5, v129
	s_load_dwordx2 s[6:7], s[4:5], 0x20
	s_load_dwordx2 s[8:9], s[4:5], 0x8
	v_add_f32_e32 v37, v84, v37
	v_fma_f32 v84, v70, s21, -v192
	v_mul_f32_e32 v191, 0x3f2c7751, v140
	v_add_f32_e32 v37, v84, v37
	v_fma_f32 v84, v74, s11, -v191
	v_mul_f32_e32 v190, 0xbf763a35, v149
	v_add_f32_e32 v37, v84, v37
	v_fma_f32 v84, v79, s18, -v190
	v_add_f32_e32 v37, v84, v37
	v_mul_lo_u16_e32 v211, 17, v81
	s_waitcnt lgkmcnt(0)
	s_barrier
	s_and_saveexec_b64 s[2:3], s[0:1]
	s_cbranch_execz .LBB0_7
; %bb.6:
	v_mul_f32_e32 v80, 0xbe3c28d5, v80
	v_mov_b32_e32 v198, v80
	v_mul_f32_e32 v88, 0x3eb8f4ab, v88
	v_fmac_f32_e32 v198, 0xbf7ba420, v44
	v_mov_b32_e32 v199, v88
	v_mul_f32_e32 v252, 0xbf06c442, v94
	v_add_f32_e32 v198, v198, v5
	v_fmac_f32_e32 v199, 0x3f6eb680, v47
	v_mov_b32_e32 v94, v252
	v_mul_f32_e32 v253, 0x3f2c7751, v109
	v_add_f32_e32 v198, v199, v198
	v_fmac_f32_e32 v94, 0xbf59a7d5, v58
	v_mov_b32_e32 v109, v253
	v_add_f32_e32 v94, v94, v198
	v_fmac_f32_e32 v109, 0x3f3d2fb0, v62
	v_mul_f32_e32 v254, 0xbf4c4adb, v116
	v_add_f32_e32 v94, v109, v94
	v_mov_b32_e32 v109, v254
	v_fmac_f32_e32 v109, 0xbf1a4643, v66
	v_mul_f32_e32 v129, 0x3f65296c, v129
	v_add_f32_e32 v94, v109, v94
	v_mov_b32_e32 v109, v129
	v_fmac_f32_e32 v109, 0x3ee437d1, v70
	v_mul_f32_e32 v140, 0xbf763a35, v140
	v_add_f32_e32 v94, v109, v94
	v_mov_b32_e32 v109, v140
	v_fmac_f32_e32 v109, 0xbe8c1d8e, v74
	v_mul_f32_e32 v149, 0x3f7ee86f, v149
	v_add_f32_e32 v94, v109, v94
	v_mov_b32_e32 v109, v149
	v_fmac_f32_e32 v109, 0x3dbcf732, v79
	v_mul_f32_e32 v77, 0xbe3c28d5, v77
	v_add_f32_e32 v199, v109, v94
	v_fma_f32 v94, v43, s21, -v77
	v_mul_f32_e32 v255, 0x3eb8f4ab, v86
	v_add_f32_e32 v94, v94, v4
	v_fma_f32 v86, v45, s10, -v255
	;; [unrolled: 3-line block ×5, first 2 shown]
	v_mul_f32_e32 v125, 0x3f65296c, v125
	v_mov_b32_e32 v57, v46
	v_mov_b32_e32 v46, v210
	v_mul_f32_e32 v210, 0xbf1a4643, v43
	v_mov_b32_e32 v55, v211
	v_mul_f32_e32 v211, 0xbf1a4643, v44
	v_add_f32_e32 v86, v94, v86
	v_fma_f32 v94, v68, s16, -v125
	v_mul_f32_e32 v83, 0xbf763a35, v132
	v_mul_f32_e32 v212, 0xbf59a7d5, v43
	;; [unrolled: 1-line block ×4, first 2 shown]
	v_add_f32_e32 v86, v94, v86
	v_fma_f32 v94, v72, s18, -v83
	v_mul_f32_e32 v147, 0x3f7ee86f, v147
	v_add_f32_e32 v174, v174, v211
	v_sub_f32_e32 v166, v210, v166
	v_mul_f32_e32 v226, 0x3ee437d1, v45
	v_mul_f32_e32 v238, 0x3f6eb680, v56
	;; [unrolled: 1-line block ×3, first 2 shown]
	v_add_f32_e32 v86, v94, v86
	v_fma_f32 v94, v76, s17, -v147
	v_sub_f32_e32 v182, v212, v182
	v_add_f32_e32 v175, v175, v225
	v_add_f32_e32 v174, v174, v5
	v_sub_f32_e32 v167, v224, v167
	v_add_f32_e32 v166, v166, v4
	v_mul_f32_e32 v213, 0xbf59a7d5, v44
	v_add_f32_e32 v198, v94, v86
	v_mul_f32_e32 v86, 0xbf59a7d5, v60
	v_mul_f32_e32 v94, 0xbf59a7d5, v62
	v_sub_f32_e32 v189, v226, v189
	v_add_f32_e32 v182, v182, v4
	v_add_f32_e32 v174, v175, v174
	;; [unrolled: 1-line block ×4, first 2 shown]
	v_sub_f32_e32 v168, v238, v168
	v_add_f32_e32 v109, v196, v213
	v_add_f32_e32 v182, v189, v182
	v_mul_f32_e32 v189, 0x3dbcf732, v64
	v_mul_f32_e32 v213, 0x3dbcf732, v66
	v_add_f32_e32 v174, v176, v174
	v_add_f32_e32 v94, v177, v94
	;; [unrolled: 1-line block ×3, first 2 shown]
	v_sub_f32_e32 v86, v86, v169
	v_mul_f32_e32 v175, 0x3f3d2fb0, v68
	v_mul_f32_e32 v225, 0x3f3d2fb0, v70
	v_add_f32_e32 v94, v94, v174
	v_add_f32_e32 v178, v178, v213
	v_add_f32_e32 v86, v86, v166
	v_sub_f32_e32 v166, v189, v170
	v_add_f32_e32 v94, v178, v94
	v_add_f32_e32 v179, v179, v225
	v_mul_f32_e32 v167, 0xbf7ba420, v72
	v_add_f32_e32 v86, v166, v86
	v_sub_f32_e32 v166, v175, v171
	v_add_f32_e32 v94, v179, v94
	v_mul_f32_e32 v179, 0xbf7ba420, v74
	v_add_f32_e32 v86, v166, v86
	v_sub_f32_e32 v166, v167, v172
	v_add_f32_e32 v179, v180, v179
	v_add_f32_e32 v86, v166, v86
	v_mul_f32_e32 v166, 0x3ee437d1, v76
	v_mul_f32_e32 v209, 0xbe8c1d8e, v44
	v_add_f32_e32 v94, v179, v94
	v_mul_f32_e32 v179, 0x3ee437d1, v79
	v_sub_f32_e32 v166, v166, v173
	v_mul_f32_e32 v223, 0xbf59a7d5, v47
	v_mul_f32_e32 v227, 0x3ee437d1, v47
	v_add_f32_e32 v179, v181, v179
	v_add_f32_e32 v166, v166, v86
	;; [unrolled: 1-line block ×3, first 2 shown]
	v_mul_f32_e32 v237, 0x3f3d2fb0, v58
	v_mul_f32_e32 v241, 0x3dbcf732, v58
	v_add_f32_e32 v116, v197, v227
	v_add_f32_e32 v109, v109, v5
	;; [unrolled: 1-line block ×5, first 2 shown]
	v_mul_f32_e32 v240, 0x3dbcf732, v56
	v_mul_f32_e32 v251, 0x3ee437d1, v62
	;; [unrolled: 1-line block ×3, first 2 shown]
	v_add_f32_e32 v109, v116, v109
	v_add_f32_e32 v116, v195, v241
	;; [unrolled: 1-line block ×4, first 2 shown]
	v_mul_f32_e32 v110, 0xbf1a4643, v60
	v_add_f32_e32 v109, v116, v109
	v_add_f32_e32 v116, v194, v132
	v_mul_f32_e32 v212, 0xbf7ba420, v66
	v_sub_f32_e32 v183, v240, v183
	v_add_f32_e32 v86, v94, v86
	v_add_f32_e32 v94, v160, v251
	;; [unrolled: 1-line block ×3, first 2 shown]
	v_mul_f32_e32 v116, 0x3f6eb680, v66
	v_add_f32_e32 v182, v183, v182
	v_mul_f32_e32 v183, 0x3f6eb680, v64
	v_sub_f32_e32 v110, v110, v184
	v_mul_f32_e32 v211, 0x3dbcf732, v70
	v_add_f32_e32 v86, v94, v86
	v_add_f32_e32 v94, v162, v212
	;; [unrolled: 1-line block ×4, first 2 shown]
	v_sub_f32_e32 v183, v183, v185
	v_mul_f32_e32 v224, 0x3f6eb680, v74
	v_add_f32_e32 v86, v94, v86
	v_add_f32_e32 v94, v163, v211
	;; [unrolled: 1-line block ×3, first 2 shown]
	v_mul_f32_e32 v116, 0xbf7ba420, v70
	v_add_f32_e32 v110, v183, v110
	v_mul_f32_e32 v183, 0xbf7ba420, v68
	v_mul_f32_e32 v173, 0xbf1a4643, v79
	v_add_f32_e32 v86, v94, v86
	v_add_f32_e32 v94, v164, v224
	v_mul_f32_e32 v208, 0xbe8c1d8e, v43
	v_add_f32_e32 v116, v192, v116
	v_sub_f32_e32 v183, v183, v186
	v_add_f32_e32 v86, v94, v86
	v_add_f32_e32 v94, v165, v173
	v_mul_f32_e32 v222, 0xbf59a7d5, v45
	v_add_f32_e32 v109, v116, v109
	v_mul_f32_e32 v116, 0x3f3d2fb0, v74
	;; [unrolled: 2-line block ×3, first 2 shown]
	v_add_f32_e32 v155, v94, v86
	v_sub_f32_e32 v86, v208, v150
	v_mul_f32_e32 v236, 0x3f3d2fb0, v56
	v_add_f32_e32 v116, v191, v116
	v_sub_f32_e32 v183, v183, v187
	v_add_f32_e32 v86, v86, v4
	v_sub_f32_e32 v94, v222, v151
	v_mul_f32_e32 v250, 0x3ee437d1, v60
	v_add_f32_e32 v109, v116, v109
	v_mul_f32_e32 v116, 0xbe8c1d8e, v79
	v_add_f32_e32 v183, v183, v110
	;; [unrolled: 2-line block ×3, first 2 shown]
	v_sub_f32_e32 v94, v236, v152
	v_add_f32_e32 v116, v190, v116
	v_mul_f32_e32 v190, 0xbf7ba420, v64
	v_sub_f32_e32 v188, v110, v188
	v_add_f32_e32 v86, v94, v86
	v_sub_f32_e32 v94, v250, v153
	v_add_f32_e32 v110, v116, v109
	v_add_f32_e32 v109, v188, v183
	v_mul_f32_e32 v188, 0x3dbcf732, v68
	v_add_f32_e32 v86, v94, v86
	v_sub_f32_e32 v94, v190, v154
	v_mul_f32_e32 v210, 0x3f6eb680, v72
	v_add_f32_e32 v86, v94, v86
	v_sub_f32_e32 v94, v188, v157
	;; [unrolled: 3-line block ×4, first 2 shown]
	v_mul_f32_e32 v221, 0xbf7ba420, v47
	v_add_f32_e32 v154, v94, v86
	v_add_f32_e32 v86, v136, v207
	v_mul_f32_e32 v235, 0xbe8c1d8e, v58
	v_add_f32_e32 v86, v86, v5
	v_add_f32_e32 v94, v137, v221
	;; [unrolled: 3-line block ×8, first 2 shown]
	v_mul_f32_e32 v220, 0xbf7ba420, v45
	v_add_f32_e32 v132, v94, v86
	v_sub_f32_e32 v86, v206, v130
	v_mul_f32_e32 v234, 0xbe8c1d8e, v56
	v_add_f32_e32 v86, v86, v4
	v_sub_f32_e32 v94, v220, v131
	;; [unrolled: 3-line block ×8, first 2 shown]
	v_mul_f32_e32 v219, 0xbf1a4643, v47
	v_add_f32_e32 v131, v94, v86
	v_add_f32_e32 v86, v117, v205
	v_mul_f32_e32 v233, 0xbf7ba420, v58
	v_add_f32_e32 v86, v86, v5
	v_add_f32_e32 v94, v118, v219
	;; [unrolled: 3-line block ×8, first 2 shown]
	v_mul_f32_e32 v218, 0xbf1a4643, v45
	v_add_f32_e32 v116, v94, v86
	v_sub_f32_e32 v86, v204, v111
	v_mul_f32_e32 v232, 0xbf7ba420, v56
	v_add_f32_e32 v86, v86, v4
	v_sub_f32_e32 v94, v218, v112
	;; [unrolled: 3-line block ×8, first 2 shown]
	v_mul_f32_e32 v217, 0x3dbcf732, v47
	v_add_f32_e32 v115, v94, v86
	v_add_f32_e32 v86, v97, v203
	v_mul_f32_e32 v231, 0xbf1a4643, v58
	v_add_f32_e32 v86, v86, v5
	v_add_f32_e32 v94, v98, v217
	;; [unrolled: 3-line block ×7, first 2 shown]
	v_mul_f32_e32 v201, 0x3f6eb680, v44
	v_mul_f32_e32 v202, 0x3f3d2fb0, v43
	v_add_f32_e32 v86, v94, v86
	v_add_f32_e32 v94, v108, v238
	v_mul_f32_e32 v215, 0x3f3d2fb0, v47
	v_mul_f32_e32 v216, 0x3dbcf732, v45
	v_mov_b32_e32 v211, v55
	v_add_f32_e32 v94, v94, v86
	v_sub_f32_e32 v86, v202, v91
	v_add_f32_e32 v55, v200, v201
	v_mul_f32_e32 v229, 0x3ee437d1, v58
	v_mul_f32_e32 v230, 0xbf1a4643, v56
	v_add_f32_e32 v86, v86, v4
	v_sub_f32_e32 v91, v216, v92
	v_add_f32_e32 v55, v55, v5
	v_add_f32_e32 v59, v59, v215
	v_add_f32_e32 v7, v7, v5
	v_add_f32_e32 v6, v6, v4
	v_mul_f32_e32 v243, 0x3dbcf732, v62
	v_mul_f32_e32 v244, 0xbf7ba420, v60
	v_add_f32_e32 v86, v91, v86
	v_sub_f32_e32 v91, v230, v93
	v_add_f32_e32 v55, v59, v55
	v_add_f32_e32 v59, v63, v229
	v_add_f32_e32 v7, v17, v7
	;; [unrolled: 8-line block ×6, first 2 shown]
	v_add_f32_e32 v6, v24, v6
	v_mov_b32_e32 v210, v46
	v_add_f32_e32 v86, v91, v86
	v_sub_f32_e32 v91, v169, v104
	v_add_f32_e32 v55, v59, v55
	v_add_f32_e32 v59, v89, v168
	v_mul_f32_e32 v46, 0x3f6eb680, v43
	v_add_f32_e32 v7, v27, v7
	v_add_f32_e32 v6, v26, v6
	;; [unrolled: 1-line block ×4, first 2 shown]
	v_sub_f32_e32 v46, v46, v57
	v_mul_f32_e32 v55, 0x3f3d2fb0, v45
	v_add_f32_e32 v7, v9, v7
	v_add_f32_e32 v6, v8, v6
	v_fma_f32 v8, v44, s21, -v80
	v_mul_f32_e32 v228, 0x3ee437d1, v56
	v_add_f32_e32 v46, v46, v4
	v_sub_f32_e32 v55, v55, v214
	v_add_f32_e32 v7, v11, v7
	v_add_f32_e32 v6, v10, v6
	;; [unrolled: 1-line block ×3, first 2 shown]
	v_fma_f32 v8, v47, s10, -v88
	v_fmac_f32_e32 v77, 0xbf7ba420, v43
	v_mul_f32_e32 v242, 0x3dbcf732, v60
	v_add_f32_e32 v46, v55, v46
	v_sub_f32_e32 v55, v228, v61
	v_add_f32_e32 v7, v13, v7
	v_add_f32_e32 v6, v12, v6
	v_add_f32_e32 v5, v8, v5
	v_fma_f32 v8, v58, s20, -v252
	v_add_f32_e32 v4, v77, v4
	v_fmac_f32_e32 v255, 0x3f6eb680, v45
	v_mul_f32_e32 v196, 0xbe8c1d8e, v64
	v_add_f32_e32 v46, v55, v46
	v_sub_f32_e32 v55, v242, v65
	v_add_f32_e32 v7, v15, v7
	v_add_f32_e32 v6, v14, v6
	v_add_f32_e32 v5, v8, v5
	v_fma_f32 v8, v62, s11, -v253
	v_add_f32_e32 v4, v255, v4
	v_fmac_f32_e32 v90, 0xbf59a7d5, v56
	v_mul_f32_e32 v184, 0xbf1a4643, v68
	v_add_f32_e32 v46, v55, v46
	v_sub_f32_e32 v55, v196, v69
	v_add_f32_e32 v7, v29, v7
	v_add_f32_e32 v6, v28, v6
	v_add_f32_e32 v5, v8, v5
	v_fma_f32 v8, v66, s19, -v254
	v_add_f32_e32 v4, v90, v4
	v_fmac_f32_e32 v102, 0x3f3d2fb0, v60
	v_mul_f32_e32 v176, 0xbf59a7d5, v72
	v_add_f32_e32 v46, v55, v46
	v_sub_f32_e32 v55, v184, v73
	v_add_f32_e32 v7, v31, v7
	v_add_f32_e32 v6, v30, v6
	v_add_f32_e32 v5, v8, v5
	v_fma_f32 v8, v70, s16, -v129
	v_add_f32_e32 v4, v102, v4
	v_fmac_f32_e32 v84, 0xbf1a4643, v64
	v_mul_f32_e32 v227, 0xbf7ba420, v76
	v_add_f32_e32 v46, v55, v46
	v_sub_f32_e32 v55, v176, v78
	v_add_f32_e32 v7, v33, v7
	v_add_f32_e32 v6, v32, v6
	v_add_f32_e32 v5, v8, v5
	v_fma_f32 v8, v74, s18, -v140
	v_add_f32_e32 v4, v84, v4
	v_fmac_f32_e32 v125, 0x3ee437d1, v68
	v_add_f32_e32 v46, v55, v46
	v_sub_f32_e32 v55, v227, v87
	v_add_f32_e32 v7, v35, v7
	v_add_f32_e32 v6, v34, v6
	;; [unrolled: 1-line block ×3, first 2 shown]
	v_fma_f32 v8, v79, s17, -v149
	v_add_f32_e32 v4, v125, v4
	v_fmac_f32_e32 v83, 0xbe8c1d8e, v72
	v_add_f32_e32 v85, v55, v46
	v_add_f32_e32 v7, v41, v7
	;; [unrolled: 1-line block ×5, first 2 shown]
	v_fmac_f32_e32 v147, 0x3dbcf732, v76
	v_add_lshl_u32 v8, v42, v211, 3
	v_add_f32_e32 v4, v147, v4
	ds_write2_b64 v8, v[6:7], v[85:86] offset1:1
	ds_write2_b64 v8, v[93:94], v[115:116] offset0:2 offset1:3
	ds_write2_b64 v8, v[131:132], v[154:155] offset0:4 offset1:5
	;; [unrolled: 1-line block ×7, first 2 shown]
	ds_write_b64 v8, v[2:3] offset:128
.LBB0_7:
	s_or_b64 exec, exec, s[2:3]
	v_add_lshl_u32 v85, v42, v81, 3
	s_waitcnt lgkmcnt(0)
	s_barrier
	ds_read2_b64 v[8:11], v85 offset1:34
	ds_read2_b64 v[4:7], v85 offset0:136 offset1:187
	ds_read2_b64 v[16:19], v85 offset0:221 offset1:255
	;; [unrolled: 1-line block ×3, first 2 shown]
	v_add_u32_e32 v20, 0x800, v85
	ds_read2_b64 v[20:23], v20 offset0:33 offset1:67
	v_cmp_gt_u16_e64 s[2:3], 17, v81
	s_and_saveexec_b64 s[4:5], s[2:3]
	s_cbranch_execz .LBB0_9
; %bb.8:
	v_add_u32_e32 v24, 0x400, v85
	ds_read2_b64 v[36:39], v24 offset0:42 offset1:229
.LBB0_9:
	s_or_b64 exec, exec, s[4:5]
	v_add_co_u32_e32 v24, vcc, 0xffffffef, v81
	v_addc_co_u32_e64 v25, s[4:5], 0, -1, vcc
	v_cndmask_b32_e64 v28, v25, 0, s[2:3]
	v_cndmask_b32_e64 v27, v24, v81, s[2:3]
	v_lshlrev_b64 v[24:25], 3, v[27:28]
	v_mov_b32_e32 v26, s9
	v_add_co_u32_e32 v24, vcc, s8, v24
	v_addc_co_u32_e32 v25, vcc, v26, v25, vcc
	v_add_u16_e32 v26, 34, v81
	s_movk_i32 s4, 0xf1
	v_add_u16_e32 v31, 0x44, v81
	v_add_u16_e32 v34, 0x66, v81
	v_mul_lo_u16_sdwa v28, v26, s4 dst_sel:DWORD dst_unused:UNUSED_PAD src0_sel:BYTE_0 src1_sel:DWORD
	v_mul_lo_u16_sdwa v32, v31, s4 dst_sel:DWORD dst_unused:UNUSED_PAD src0_sel:BYTE_0 src1_sel:DWORD
	;; [unrolled: 1-line block ×3, first 2 shown]
	v_lshrrev_b16_e32 v28, 12, v28
	v_lshrrev_b16_e32 v32, 12, v32
	;; [unrolled: 1-line block ×3, first 2 shown]
	v_mul_lo_u16_e32 v29, 17, v28
	v_mul_lo_u16_e32 v33, 17, v32
	;; [unrolled: 1-line block ×3, first 2 shown]
	v_sub_u16_e32 v29, v26, v29
	v_mov_b32_e32 v26, 3
	v_sub_u16_e32 v31, v31, v33
	v_sub_u16_e32 v34, v34, v40
	v_lshlrev_b32_sdwa v30, v26, v29 dst_sel:DWORD dst_unused:UNUSED_PAD src0_sel:DWORD src1_sel:BYTE_0
	v_lshlrev_b32_sdwa v33, v26, v31 dst_sel:DWORD dst_unused:UNUSED_PAD src0_sel:DWORD src1_sel:BYTE_0
	v_lshlrev_b32_sdwa v40, v26, v34 dst_sel:DWORD dst_unused:UNUSED_PAD src0_sel:DWORD src1_sel:BYTE_0
	global_load_dwordx2 v[65:66], v[24:25], off
	global_load_dwordx2 v[61:62], v30, s[8:9]
	global_load_dwordx2 v[59:60], v33, s[8:9]
	;; [unrolled: 1-line block ×3, first 2 shown]
	v_add_u16_e32 v24, 0x88, v81
	v_mul_lo_u16_sdwa v25, v24, s4 dst_sel:DWORD dst_unused:UNUSED_PAD src0_sel:BYTE_0 src1_sel:DWORD
	v_lshrrev_b16_e32 v30, 12, v25
	v_mul_lo_u16_e32 v25, 17, v30
	v_sub_u16_e32 v33, v24, v25
	v_lshlrev_b32_sdwa v24, v26, v33 dst_sel:DWORD dst_unused:UNUSED_PAD src0_sel:DWORD src1_sel:BYTE_0
	global_load_dwordx2 v[63:64], v24, s[8:9]
	v_add_u16_e32 v24, 0xaa, v81
	v_mul_lo_u16_sdwa v25, v24, s4 dst_sel:DWORD dst_unused:UNUSED_PAD src0_sel:BYTE_0 src1_sel:DWORD
	v_lshrrev_b16_e32 v25, 12, v25
	v_mul_lo_u16_e32 v25, 17, v25
	v_sub_u16_e32 v87, v24, v25
	v_and_b32_e32 v26, 0xff, v87
	v_lshlrev_b32_e32 v24, 3, v26
	global_load_dwordx2 v[55:56], v24, s[8:9]
	v_cmp_lt_u16_e32 vcc, 16, v81
	s_load_dwordx4 s[4:7], s[6:7], 0x0
	s_waitcnt vmcnt(0) lgkmcnt(0)
	s_barrier
	v_mul_f32_e32 v25, v6, v66
	v_mul_f32_e32 v24, v7, v66
	;; [unrolled: 1-line block ×3, first 2 shown]
	v_fmac_f32_e32 v25, v7, v65
	v_mul_f32_e32 v41, v16, v62
	v_fma_f32 v6, v6, v65, -v24
	v_fma_f32 v16, v16, v61, -v40
	v_sub_f32_e32 v6, v8, v6
	v_fma_f32 v8, v8, 2.0, -v6
	v_mul_f32_e32 v43, v19, v60
	v_mul_f32_e32 v44, v18, v60
	;; [unrolled: 1-line block ×6, first 2 shown]
	v_fmac_f32_e32 v41, v17, v61
	v_fma_f32 v18, v18, v59, -v43
	v_fmac_f32_e32 v44, v19, v59
	v_mul_f32_e32 v7, v39, v56
	v_mul_f32_e32 v40, v38, v56
	v_fma_f32 v24, v38, v55, -v7
	v_cndmask_b32_e64 v38, 0, 34, vcc
	v_sub_f32_e32 v7, v9, v25
	v_add_u32_e32 v27, v27, v38
	v_fma_f32 v9, v9, 2.0, -v7
	v_add_lshl_u32 v88, v42, v27, 3
	ds_write2_b64 v88, v[8:9], v[6:7] offset1:17
	v_mad_legacy_u16 v6, v28, 34, v29
	v_and_b32_e32 v6, 0xff, v6
	v_add_lshl_u32 v89, v42, v6, 3
	v_mul_u32_u24_e32 v6, 34, v32
	v_add_u32_sdwa v6, v6, v31 dst_sel:DWORD dst_unused:UNUSED_PAD src0_sel:DWORD src1_sel:BYTE_0
	v_add_lshl_u32 v90, v42, v6, 3
	v_mul_u32_u24_e32 v6, 34, v35
	v_add_u32_sdwa v6, v6, v34 dst_sel:DWORD dst_unused:UNUSED_PAD src0_sel:DWORD src1_sel:BYTE_0
	v_fma_f32 v20, v20, v57, -v45
	v_fmac_f32_e32 v46, v21, v57
	v_fma_f32 v22, v22, v63, -v47
	v_fmac_f32_e32 v67, v23, v63
	v_add_lshl_u32 v91, v42, v6, 3
	v_mul_u32_u24_e32 v6, 34, v30
	v_fmac_f32_e32 v40, v39, v55
	v_sub_f32_e32 v16, v10, v16
	v_sub_f32_e32 v17, v11, v41
	;; [unrolled: 1-line block ×8, first 2 shown]
	v_add_u32_sdwa v6, v6, v33 dst_sel:DWORD dst_unused:UNUSED_PAD src0_sel:DWORD src1_sel:BYTE_0
	v_fma_f32 v10, v10, 2.0, -v16
	v_fma_f32 v11, v11, 2.0, -v17
	;; [unrolled: 1-line block ×8, first 2 shown]
	v_sub_f32_e32 v24, v36, v24
	v_sub_f32_e32 v25, v37, v40
	v_add_lshl_u32 v92, v42, v6, 3
	ds_write2_b64 v89, v[10:11], v[16:17] offset1:17
	ds_write2_b64 v90, v[12:13], v[18:19] offset1:17
	ds_write2_b64 v91, v[14:15], v[20:21] offset1:17
	ds_write2_b64 v92, v[4:5], v[22:23] offset1:17
	s_and_saveexec_b64 s[10:11], s[2:3]
	s_cbranch_execz .LBB0_11
; %bb.10:
	v_add_lshl_u32 v6, v42, v26, 3
	v_fma_f32 v5, v37, 2.0, -v25
	v_fma_f32 v4, v36, 2.0, -v24
	v_add_u32_e32 v6, 0x800, v6
	ds_write2_b64 v6, v[4:5], v[24:25] offset0:84 offset1:101
.LBB0_11:
	s_or_b64 exec, exec, s[10:11]
	v_mov_b32_e32 v4, s8
	s_movk_i32 s10, 0x50
	v_mov_b32_e32 v5, s9
	v_mad_u64_u32 v[26:27], s[8:9], v81, s10, v[4:5]
	s_waitcnt lgkmcnt(0)
	s_barrier
	global_load_dwordx4 v[16:19], v[26:27], off offset:136
	global_load_dwordx4 v[12:15], v[26:27], off offset:152
	;; [unrolled: 1-line block ×5, first 2 shown]
	ds_read2_b64 v[26:29], v85 offset1:34
	ds_read2_b64 v[30:33], v85 offset0:68 offset1:102
	ds_read_b64 v[46:47], v85 offset:1088
	ds_read2_b64 v[34:37], v85 offset0:170 offset1:204
	v_add_u32_e32 v38, 0x400, v85
	v_add_u32_e32 v42, 0x800, v85
	ds_read2_b64 v[38:41], v38 offset0:110 offset1:144
	ds_read2_b64 v[42:45], v42 offset0:50 offset1:84
	s_mov_b32 s8, 0x3f575c64
	s_mov_b32 s9, 0x3ed4b147
	;; [unrolled: 1-line block ×5, first 2 shown]
	s_waitcnt vmcnt(4) lgkmcnt(5)
	v_mul_f32_e32 v67, v29, v17
	v_mul_f32_e32 v68, v28, v17
	s_waitcnt lgkmcnt(4)
	v_mul_f32_e32 v69, v31, v19
	s_waitcnt vmcnt(3)
	v_mul_f32_e32 v71, v33, v13
	s_waitcnt vmcnt(2) lgkmcnt(2)
	v_mul_f32_e32 v75, v35, v9
	s_waitcnt vmcnt(1) lgkmcnt(1)
	v_mul_f32_e32 v79, v39, v5
	v_fma_f32 v28, v28, v16, -v67
	v_mul_f32_e32 v70, v30, v19
	v_mul_f32_e32 v72, v32, v13
	;; [unrolled: 1-line block ×4, first 2 shown]
	v_fmac_f32_e32 v68, v29, v16
	v_fma_f32 v29, v30, v18, -v69
	v_fma_f32 v30, v32, v12, -v71
	;; [unrolled: 1-line block ×4, first 2 shown]
	v_add_f32_e32 v38, v26, v28
	v_mul_f32_e32 v73, v47, v15
	v_fmac_f32_e32 v70, v31, v18
	v_fmac_f32_e32 v80, v39, v4
	v_add_f32_e32 v39, v27, v68
	v_add_f32_e32 v38, v38, v29
	v_mul_f32_e32 v74, v46, v15
	v_fmac_f32_e32 v72, v33, v12
	v_fma_f32 v31, v46, v14, -v73
	v_add_f32_e32 v39, v39, v70
	v_add_f32_e32 v38, v38, v30
	v_mul_f32_e32 v77, v37, v11
	v_fmac_f32_e32 v74, v47, v14
	v_add_f32_e32 v39, v39, v72
	v_add_f32_e32 v38, v38, v31
	v_mul_f32_e32 v78, v36, v11
	v_fmac_f32_e32 v76, v35, v8
	v_fma_f32 v33, v36, v10, -v77
	v_add_f32_e32 v39, v39, v74
	v_add_f32_e32 v38, v38, v32
	v_mul_f32_e32 v83, v41, v7
	v_fmac_f32_e32 v78, v37, v10
	v_add_f32_e32 v39, v39, v76
	v_add_f32_e32 v38, v38, v33
	v_mul_f32_e32 v84, v40, v7
	s_waitcnt vmcnt(0) lgkmcnt(0)
	v_mul_f32_e32 v86, v43, v21
	v_mul_f32_e32 v94, v45, v23
	v_fma_f32 v35, v40, v6, -v83
	v_add_f32_e32 v39, v39, v78
	v_add_f32_e32 v38, v38, v34
	v_mul_f32_e32 v93, v42, v21
	v_fmac_f32_e32 v84, v41, v6
	v_fma_f32 v36, v42, v20, -v86
	v_fma_f32 v37, v44, v22, -v94
	v_add_f32_e32 v39, v39, v80
	v_add_f32_e32 v38, v38, v35
	v_mul_f32_e32 v95, v44, v23
	v_fmac_f32_e32 v93, v43, v20
	v_add_f32_e32 v40, v28, v37
	v_sub_f32_e32 v28, v28, v37
	v_add_f32_e32 v39, v39, v84
	v_add_f32_e32 v38, v38, v36
	v_fmac_f32_e32 v95, v45, v22
	v_mul_f32_e32 v44, 0xbf0a6770, v28
	v_add_f32_e32 v39, v39, v93
	v_add_f32_e32 v67, v38, v37
	v_mul_f32_e32 v38, 0xbf68dda4, v28
	v_mul_f32_e32 v73, 0xbf7d64f0, v28
	v_mul_f32_e32 v83, 0xbf4178ce, v28
	v_mul_f32_e32 v28, 0xbe903f40, v28
	v_add_f32_e32 v41, v68, v95
	v_sub_f32_e32 v42, v68, v95
	v_mov_b32_e32 v47, v44
	v_add_f32_e32 v68, v39, v95
	v_mov_b32_e32 v39, v38
	v_mov_b32_e32 v75, v73
	;; [unrolled: 1-line block ×4, first 2 shown]
	v_fma_f32 v44, v41, s8, -v44
	v_fmac_f32_e32 v47, 0x3f575c64, v41
	v_fmac_f32_e32 v39, 0x3ed4b147, v41
	v_fma_f32 v38, v41, s9, -v38
	v_fmac_f32_e32 v75, 0xbe11bafb, v41
	v_fma_f32 v73, v41, s10, -v73
	;; [unrolled: 2-line block ×4, first 2 shown]
	v_mul_f32_e32 v43, 0xbf0a6770, v42
	v_mul_f32_e32 v45, 0xbf68dda4, v42
	v_add_f32_e32 v44, v27, v44
	v_add_f32_e32 v47, v27, v47
	;; [unrolled: 1-line block ×4, first 2 shown]
	v_mul_f32_e32 v69, 0xbf7d64f0, v42
	v_add_f32_e32 v75, v27, v75
	v_add_f32_e32 v73, v27, v73
	v_mul_f32_e32 v77, 0xbf4178ce, v42
	v_add_f32_e32 v86, v27, v86
	v_add_f32_e32 v83, v27, v83
	;; [unrolled: 3-line block ×3, first 2 shown]
	v_add_f32_e32 v28, v29, v36
	v_sub_f32_e32 v29, v29, v36
	v_sub_f32_e32 v36, v70, v93
	v_fma_f32 v46, v40, s8, -v43
	v_fmac_f32_e32 v43, 0x3f575c64, v40
	v_fma_f32 v37, v40, s9, -v45
	v_fmac_f32_e32 v45, 0x3ed4b147, v40
	v_fma_f32 v71, v40, s10, -v69
	v_fmac_f32_e32 v69, 0xbe11bafb, v40
	v_fma_f32 v79, v40, s11, -v77
	v_fmac_f32_e32 v77, 0xbf27a4f4, v40
	v_fma_f32 v94, v40, s16, -v42
	v_fmac_f32_e32 v42, 0xbf75a155, v40
	v_mul_f32_e32 v41, 0xbf68dda4, v36
	v_add_f32_e32 v46, v26, v46
	v_add_f32_e32 v43, v26, v43
	;; [unrolled: 1-line block ×10, first 2 shown]
	v_fma_f32 v42, v28, s9, -v41
	v_add_f32_e32 v40, v70, v93
	v_add_f32_e32 v42, v42, v46
	v_mul_f32_e32 v46, 0xbf68dda4, v29
	v_fmac_f32_e32 v41, 0x3ed4b147, v28
	v_add_f32_e32 v41, v41, v43
	v_fma_f32 v43, v40, s9, -v46
	v_add_f32_e32 v43, v43, v44
	v_mul_f32_e32 v44, 0xbf4178ce, v36
	v_mov_b32_e32 v70, v46
	v_fma_f32 v46, v28, s11, -v44
	v_fmac_f32_e32 v70, 0x3ed4b147, v40
	v_add_f32_e32 v37, v46, v37
	v_mul_f32_e32 v46, 0xbf4178ce, v29
	v_fmac_f32_e32 v44, 0xbf27a4f4, v28
	v_add_f32_e32 v47, v70, v47
	v_mov_b32_e32 v70, v46
	v_add_f32_e32 v44, v44, v45
	v_fma_f32 v45, v40, s11, -v46
	v_fmac_f32_e32 v70, 0xbf27a4f4, v40
	v_add_f32_e32 v38, v45, v38
	v_mul_f32_e32 v45, 0x3e903f40, v36
	v_add_f32_e32 v39, v70, v39
	v_fma_f32 v46, v28, s16, -v45
	v_mul_f32_e32 v70, 0x3e903f40, v29
	v_add_f32_e32 v46, v46, v71
	v_mov_b32_e32 v71, v70
	v_fmac_f32_e32 v45, 0xbf75a155, v28
	v_fmac_f32_e32 v71, 0xbf75a155, v40
	v_add_f32_e32 v45, v45, v69
	v_fma_f32 v69, v40, s16, -v70
	v_mul_f32_e32 v70, 0x3f7d64f0, v36
	v_add_f32_e32 v71, v71, v75
	v_add_f32_e32 v69, v69, v73
	v_fma_f32 v73, v28, s10, -v70
	v_mul_f32_e32 v75, 0x3f7d64f0, v29
	v_fmac_f32_e32 v70, 0xbe11bafb, v28
	v_mul_f32_e32 v36, 0x3f0a6770, v36
	v_mul_f32_e32 v29, 0x3f0a6770, v29
	v_add_f32_e32 v70, v70, v77
	v_fma_f32 v77, v28, s8, -v36
	v_fmac_f32_e32 v36, 0x3f575c64, v28
	v_fma_f32 v28, v40, s8, -v29
	v_add_f32_e32 v73, v73, v79
	v_mov_b32_e32 v79, v75
	v_fma_f32 v75, v40, s10, -v75
	v_add_f32_e32 v27, v28, v27
	v_add_f32_e32 v28, v30, v35
	v_sub_f32_e32 v30, v30, v35
	v_sub_f32_e32 v35, v72, v84
	v_add_f32_e32 v75, v75, v83
	v_mov_b32_e32 v83, v29
	v_add_f32_e32 v26, v36, v26
	v_mul_f32_e32 v36, 0xbf7d64f0, v35
	v_fmac_f32_e32 v79, 0xbe11bafb, v40
	v_fmac_f32_e32 v83, 0x3f575c64, v40
	v_fma_f32 v40, v28, s10, -v36
	v_add_f32_e32 v29, v72, v84
	v_add_f32_e32 v40, v40, v42
	v_mul_f32_e32 v42, 0xbf7d64f0, v30
	v_fmac_f32_e32 v36, 0xbe11bafb, v28
	v_mov_b32_e32 v72, v42
	v_add_f32_e32 v36, v36, v41
	v_fma_f32 v41, v29, s10, -v42
	v_mul_f32_e32 v42, 0x3e903f40, v35
	v_add_f32_e32 v41, v41, v43
	v_fma_f32 v43, v28, s16, -v42
	v_fmac_f32_e32 v72, 0xbe11bafb, v29
	v_add_f32_e32 v37, v43, v37
	v_mul_f32_e32 v43, 0x3e903f40, v30
	v_add_f32_e32 v47, v72, v47
	v_mov_b32_e32 v72, v43
	v_fma_f32 v43, v29, s16, -v43
	v_fmac_f32_e32 v42, 0xbf75a155, v28
	v_add_f32_e32 v38, v43, v38
	v_mul_f32_e32 v43, 0x3f68dda4, v35
	v_add_f32_e32 v42, v42, v44
	v_fma_f32 v44, v28, s9, -v43
	v_fmac_f32_e32 v72, 0xbf75a155, v29
	v_add_f32_e32 v44, v44, v46
	v_mul_f32_e32 v46, 0x3f68dda4, v30
	v_add_f32_e32 v39, v72, v39
	v_mov_b32_e32 v72, v46
	v_fmac_f32_e32 v43, 0x3ed4b147, v28
	v_fmac_f32_e32 v72, 0x3ed4b147, v29
	v_add_f32_e32 v43, v43, v45
	v_fma_f32 v45, v29, s9, -v46
	v_mul_f32_e32 v46, 0xbf0a6770, v35
	v_add_f32_e32 v71, v72, v71
	v_add_f32_e32 v45, v45, v69
	v_fma_f32 v69, v28, s8, -v46
	v_mul_f32_e32 v72, 0xbf0a6770, v30
	v_fmac_f32_e32 v46, 0x3f575c64, v28
	v_mul_f32_e32 v35, 0xbf4178ce, v35
	v_mul_f32_e32 v30, 0xbf4178ce, v30
	v_add_f32_e32 v69, v69, v73
	v_mov_b32_e32 v73, v72
	v_add_f32_e32 v46, v46, v70
	v_fma_f32 v70, v29, s8, -v72
	v_fma_f32 v72, v28, s11, -v35
	v_fmac_f32_e32 v35, 0xbf27a4f4, v28
	v_fma_f32 v28, v29, s11, -v30
	v_add_f32_e32 v70, v70, v75
	v_mov_b32_e32 v75, v30
	v_add_f32_e32 v27, v28, v27
	v_add_f32_e32 v28, v31, v34
	v_sub_f32_e32 v30, v31, v34
	v_sub_f32_e32 v31, v74, v80
	v_mul_f32_e32 v34, 0xbf4178ce, v31
	v_add_f32_e32 v26, v35, v26
	v_fma_f32 v35, v28, s11, -v34
	v_fmac_f32_e32 v73, 0x3f575c64, v29
	v_fmac_f32_e32 v75, 0xbf27a4f4, v29
	v_add_f32_e32 v29, v74, v80
	v_add_f32_e32 v35, v35, v40
	v_mul_f32_e32 v40, 0xbf4178ce, v30
	v_fmac_f32_e32 v34, 0xbf27a4f4, v28
	v_mov_b32_e32 v74, v40
	v_add_f32_e32 v34, v34, v36
	v_fma_f32 v36, v29, s11, -v40
	v_mul_f32_e32 v40, 0x3f7d64f0, v31
	v_add_f32_e32 v36, v36, v41
	v_fma_f32 v41, v28, s10, -v40
	v_fmac_f32_e32 v74, 0xbf27a4f4, v29
	v_add_f32_e32 v37, v41, v37
	v_mul_f32_e32 v41, 0x3f7d64f0, v30
	v_add_f32_e32 v47, v74, v47
	v_mov_b32_e32 v74, v41
	v_fmac_f32_e32 v74, 0xbe11bafb, v29
	v_add_f32_e32 v74, v74, v39
	v_fma_f32 v39, v29, s10, -v41
	v_add_f32_e32 v41, v39, v38
	v_mul_f32_e32 v38, 0xbf0a6770, v31
	v_fmac_f32_e32 v40, 0xbe11bafb, v28
	v_fma_f32 v39, v28, s8, -v38
	v_add_f32_e32 v40, v40, v42
	v_add_f32_e32 v42, v39, v44
	v_mul_f32_e32 v39, 0xbf0a6770, v30
	v_fmac_f32_e32 v38, 0x3f575c64, v28
	v_add_f32_e32 v43, v38, v43
	v_fma_f32 v38, v29, s8, -v39
	v_add_f32_e32 v45, v38, v45
	v_mul_f32_e32 v38, 0xbe903f40, v31
	v_mov_b32_e32 v44, v39
	v_fma_f32 v39, v28, s16, -v38
	v_add_f32_e32 v69, v39, v69
	v_mul_f32_e32 v39, 0xbe903f40, v30
	v_fmac_f32_e32 v38, 0xbf75a155, v28
	v_add_f32_e32 v77, v77, v94
	v_add_f32_e32 v46, v38, v46
	v_fma_f32 v38, v29, s16, -v39
	v_mul_f32_e32 v31, 0x3f68dda4, v31
	v_add_f32_e32 v72, v72, v77
	v_fmac_f32_e32 v44, 0x3f575c64, v29
	v_add_f32_e32 v70, v38, v70
	v_fma_f32 v38, v28, s9, -v31
	v_mul_f32_e32 v30, 0x3f68dda4, v30
	v_add_f32_e32 v79, v79, v86
	v_add_f32_e32 v83, v83, v95
	;; [unrolled: 1-line block ×3, first 2 shown]
	v_mov_b32_e32 v71, v39
	v_add_f32_e32 v72, v38, v72
	v_mov_b32_e32 v38, v30
	v_add_f32_e32 v73, v73, v79
	v_add_f32_e32 v75, v75, v83
	v_fmac_f32_e32 v71, 0xbf75a155, v29
	v_fmac_f32_e32 v38, 0x3ed4b147, v29
	v_add_f32_e32 v77, v76, v78
	v_sub_f32_e32 v76, v76, v78
	v_add_f32_e32 v71, v71, v73
	v_add_f32_e32 v73, v38, v75
	v_fmac_f32_e32 v31, 0x3ed4b147, v28
	v_fma_f32 v28, v29, s9, -v30
	v_add_f32_e32 v75, v32, v33
	v_sub_f32_e32 v79, v32, v33
	v_mul_f32_e32 v30, 0xbe903f40, v76
	v_add_f32_e32 v26, v31, v26
	v_add_f32_e32 v27, v28, v27
	v_fma_f32 v28, v75, s16, -v30
	v_mul_f32_e32 v31, 0xbe903f40, v79
	v_fmac_f32_e32 v30, 0xbf75a155, v75
	v_add_f32_e32 v38, v30, v34
	v_fma_f32 v30, v77, s16, -v31
	v_mul_f32_e32 v32, 0x3f0a6770, v76
	v_add_f32_e32 v39, v30, v36
	v_fma_f32 v30, v75, s8, -v32
	v_mul_f32_e32 v33, 0x3f0a6770, v79
	v_fmac_f32_e32 v32, 0x3f575c64, v75
	v_add_f32_e32 v36, v32, v40
	v_fma_f32 v32, v77, s8, -v33
	v_mul_f32_e32 v34, 0xbf4178ce, v76
	v_add_f32_e32 v28, v28, v35
	v_add_f32_e32 v30, v30, v37
	;; [unrolled: 1-line block ×3, first 2 shown]
	v_fma_f32 v32, v75, s11, -v34
	v_mul_f32_e32 v35, 0xbf4178ce, v79
	v_fmac_f32_e32 v34, 0xbf27a4f4, v75
	v_mov_b32_e32 v29, v31
	v_add_f32_e32 v32, v32, v42
	v_add_f32_e32 v42, v34, v43
	v_fma_f32 v34, v77, s11, -v35
	v_mul_f32_e32 v40, 0x3f68dda4, v76
	v_fmac_f32_e32 v29, 0xbf75a155, v77
	v_mov_b32_e32 v31, v33
	v_mov_b32_e32 v33, v35
	v_add_f32_e32 v43, v34, v45
	v_fma_f32 v34, v75, s9, -v40
	v_fmac_f32_e32 v40, 0x3ed4b147, v75
	v_add_f32_e32 v29, v29, v47
	v_fmac_f32_e32 v33, 0xbf27a4f4, v77
	v_mul_f32_e32 v41, 0x3f68dda4, v79
	v_add_f32_e32 v40, v40, v46
	v_mul_f32_e32 v46, 0xbf7d64f0, v76
	v_mul_f32_e32 v47, 0xbf7d64f0, v79
	v_add_f32_e32 v33, v33, v44
	v_mov_b32_e32 v35, v41
	v_fma_f32 v44, v75, s10, -v46
	v_mov_b32_e32 v45, v47
	v_fmac_f32_e32 v46, 0xbe11bafb, v75
	v_fmac_f32_e32 v31, 0x3f575c64, v77
	;; [unrolled: 1-line block ×3, first 2 shown]
	v_fma_f32 v41, v77, s9, -v41
	v_fmac_f32_e32 v45, 0xbe11bafb, v77
	v_add_f32_e32 v46, v46, v26
	v_fma_f32 v26, v77, s10, -v47
	v_lshl_add_u32 v86, v81, 3, v210
	v_add_f32_e32 v31, v31, v74
	v_add_f32_e32 v34, v34, v69
	;; [unrolled: 1-line block ×7, first 2 shown]
	v_add_u32_e32 v27, 0x400, v86
	v_add_u32_e32 v26, 0x800, v86
	ds_write_b64 v86, v[67:68]
	ds_write2_b64 v86, v[28:29], v[30:31] offset0:34 offset1:68
	ds_write2_b64 v86, v[32:33], v[34:35] offset0:102 offset1:136
	;; [unrolled: 1-line block ×5, first 2 shown]
	s_waitcnt lgkmcnt(0)
	s_barrier
	s_and_saveexec_b64 s[8:9], s[0:1]
	s_cbranch_execz .LBB0_13
; %bb.12:
	global_load_dwordx2 v[69:70], v82, s[12:13] offset:2992
	s_add_u32 s10, s12, 0xbb0
	s_addc_u32 s11, s13, 0
	global_load_dwordx2 v[109:110], v82, s[10:11] offset:176
	global_load_dwordx2 v[111:112], v82, s[10:11] offset:352
	;; [unrolled: 1-line block ×14, first 2 shown]
	ds_read_b64 v[71:72], v86
	global_load_dwordx2 v[137:138], v82, s[10:11] offset:2640
	global_load_dwordx2 v[139:140], v82, s[10:11] offset:2816
	s_waitcnt vmcnt(16) lgkmcnt(0)
	v_mul_f32_e32 v73, v72, v70
	v_mul_f32_e32 v74, v71, v70
	v_fma_f32 v73, v71, v69, -v73
	v_fmac_f32_e32 v74, v72, v69
	ds_write_b64 v86, v[73:74]
	ds_read2_b64 v[69:72], v86 offset0:22 offset1:44
	ds_read2_b64 v[73:76], v86 offset0:66 offset1:88
	;; [unrolled: 1-line block ×7, first 2 shown]
	s_waitcnt vmcnt(15) lgkmcnt(6)
	v_mul_f32_e32 v83, v70, v110
	v_mul_f32_e32 v142, v69, v110
	s_waitcnt vmcnt(14)
	v_mul_f32_e32 v84, v72, v112
	v_mul_f32_e32 v110, v71, v112
	s_waitcnt vmcnt(13) lgkmcnt(5)
	v_mul_f32_e32 v143, v74, v114
	v_mul_f32_e32 v112, v73, v114
	s_waitcnt vmcnt(12)
	v_mul_f32_e32 v144, v76, v116
	v_mul_f32_e32 v114, v75, v116
	;; [unrolled: 6-line block ×6, first 2 shown]
	v_fma_f32 v141, v69, v109, -v83
	v_fmac_f32_e32 v142, v70, v109
	v_fma_f32 v109, v71, v111, -v84
	v_fmac_f32_e32 v110, v72, v111
	;; [unrolled: 2-line block ×12, first 2 shown]
	ds_write2_b64 v86, v[141:142], v[109:110] offset0:22 offset1:44
	ds_write2_b64 v86, v[111:112], v[113:114] offset0:66 offset1:88
	;; [unrolled: 1-line block ×6, first 2 shown]
	ds_read2_b64 v[69:72], v26 offset0:74 offset1:96
	s_waitcnt vmcnt(3) lgkmcnt(7)
	v_mul_f32_e32 v153, v106, v134
	v_mul_f32_e32 v132, v105, v134
	s_waitcnt vmcnt(2)
	v_mul_f32_e32 v134, v108, v136
	v_mul_f32_e32 v74, v107, v136
	v_fma_f32 v131, v105, v133, -v153
	v_fmac_f32_e32 v132, v106, v133
	v_fma_f32 v73, v107, v135, -v134
	v_fmac_f32_e32 v74, v108, v135
	ds_write2_b64 v26, v[131:132], v[73:74] offset0:30 offset1:52
	s_waitcnt vmcnt(1) lgkmcnt(1)
	v_mul_f32_e32 v27, v70, v138
	v_mul_f32_e32 v74, v69, v138
	v_fma_f32 v73, v69, v137, -v27
	v_fmac_f32_e32 v74, v70, v137
	s_waitcnt vmcnt(0)
	v_mul_f32_e32 v27, v72, v140
	v_mul_f32_e32 v70, v71, v140
	v_fma_f32 v69, v71, v139, -v27
	v_fmac_f32_e32 v70, v72, v139
	ds_write2_b64 v26, v[73:74], v[69:70] offset0:74 offset1:96
.LBB0_13:
	s_or_b64 exec, exec, s[8:9]
	s_waitcnt lgkmcnt(0)
	s_barrier
	s_and_saveexec_b64 s[8:9], s[0:1]
	s_cbranch_execz .LBB0_15
; %bb.14:
	ds_read_b64 v[67:68], v86
	ds_read2_b64 v[28:31], v86 offset0:22 offset1:44
	ds_read2_b64 v[32:35], v86 offset0:66 offset1:88
	;; [unrolled: 1-line block ×4, first 2 shown]
	v_add_u32_e32 v0, 0x400, v86
	ds_read2_b64 v[24:27], v0 offset0:114 offset1:136
	v_add_u32_e32 v0, 0x800, v86
	ds_read2_b64 v[69:72], v0 offset0:30 offset1:52
	ds_read2_b64 v[36:39], v86 offset0:198 offset1:220
	;; [unrolled: 1-line block ×3, first 2 shown]
	s_waitcnt lgkmcnt(2)
	v_mov_b32_e32 v51, v69
	v_mov_b32_e32 v53, v26
	;; [unrolled: 1-line block ×6, first 2 shown]
.LBB0_15:
	s_or_b64 exec, exec, s[8:9]
	s_waitcnt lgkmcnt(0)
	v_sub_f32_e32 v109, v29, v3
	v_add_f32_e32 v93, v2, v28
	v_add_f32_e32 v111, v3, v29
	s_mov_b32 s10, 0xbf1a4643
	v_mul_f32_e32 v75, 0xbf4c4adb, v109
	v_sub_f32_e32 v110, v31, v1
	v_mul_f32_e32 v76, 0xbf1a4643, v111
	v_fma_f32 v26, v93, s10, -v75
	v_add_f32_e32 v94, v0, v30
	v_add_f32_e32 v113, v1, v31
	s_mov_b32 s16, 0xbe8c1d8e
	v_mul_f32_e32 v77, 0x3f763a35, v110
	v_sub_f32_e32 v95, v28, v2
	v_add_f32_e32 v26, v67, v26
	v_mov_b32_e32 v27, v76
	v_mul_f32_e32 v78, 0xbe8c1d8e, v113
	v_fma_f32 v71, v94, s16, -v77
	v_fmac_f32_e32 v27, 0xbf4c4adb, v95
	s_mov_b32 s11, 0xbf59a7d5
	v_mul_f32_e32 v73, 0xbf06c442, v109
	v_sub_f32_e32 v97, v30, v0
	v_add_f32_e32 v26, v71, v26
	v_mov_b32_e32 v71, v78
	v_add_f32_e32 v27, v68, v27
	v_mul_f32_e32 v74, 0xbf59a7d5, v111
	v_fma_f32 v69, v93, s11, -v73
	v_fmac_f32_e32 v71, 0x3f763a35, v97
	s_mov_b32 s17, 0x3ee437d1
	v_mul_f32_e32 v126, 0x3f65296c, v110
	v_add_f32_e32 v69, v67, v69
	v_mov_b32_e32 v70, v74
	v_add_f32_e32 v27, v71, v27
	v_mul_f32_e32 v129, 0x3ee437d1, v113
	v_fma_f32 v71, v94, s17, -v126
	v_fmac_f32_e32 v70, 0xbf06c442, v95
	v_add_f32_e32 v69, v71, v69
	v_mov_b32_e32 v71, v129
	v_sub_f32_e32 v112, v33, v50
	v_add_f32_e32 v70, v68, v70
	v_fmac_f32_e32 v71, 0x3f65296c, v97
	v_add_f32_e32 v96, v49, v32
	v_add_f32_e32 v115, v50, v33
	s_mov_b32 s18, 0x3f6eb680
	v_mul_f32_e32 v79, 0xbeb8f4ab, v112
	v_add_f32_e32 v70, v71, v70
	v_mul_f32_e32 v80, 0x3f6eb680, v115
	v_fma_f32 v71, v96, s18, -v79
	v_sub_f32_e32 v99, v32, v49
	v_add_f32_e32 v26, v71, v26
	v_mov_b32_e32 v71, v80
	v_fmac_f32_e32 v71, 0xbeb8f4ab, v99
	s_mov_b32 s19, 0x3dbcf732
	v_mul_f32_e32 v130, 0xbf7ee86f, v112
	v_add_f32_e32 v27, v71, v27
	v_mul_f32_e32 v134, 0x3dbcf732, v115
	v_fma_f32 v71, v96, s19, -v130
	v_add_f32_e32 v69, v71, v69
	v_mov_b32_e32 v71, v134
	v_sub_f32_e32 v114, v35, v52
	v_fmac_f32_e32 v71, 0xbf7ee86f, v99
	v_add_f32_e32 v98, v51, v34
	v_add_f32_e32 v118, v52, v35
	v_mul_f32_e32 v125, 0xbf06c442, v114
	v_add_f32_e32 v70, v71, v70
	v_mul_f32_e32 v128, 0xbf59a7d5, v118
	v_fma_f32 v71, v98, s11, -v125
	v_sub_f32_e32 v101, v34, v51
	v_add_f32_e32 v26, v71, v26
	v_mov_b32_e32 v71, v128
	v_fmac_f32_e32 v71, 0xbf06c442, v101
	v_mul_f32_e32 v133, 0x3f4c4adb, v114
	v_add_f32_e32 v27, v71, v27
	v_mul_f32_e32 v138, 0xbf1a4643, v118
	v_fma_f32 v71, v98, s10, -v133
	v_add_f32_e32 v69, v71, v69
	v_mov_b32_e32 v71, v138
	v_sub_f32_e32 v116, v45, v54
	v_fmac_f32_e32 v71, 0x3f4c4adb, v101
	v_add_f32_e32 v100, v53, v44
	v_add_f32_e32 v119, v54, v45
	v_mul_f32_e32 v127, 0x3f7ee86f, v116
	v_add_f32_e32 v70, v71, v70
	v_mul_f32_e32 v131, 0x3dbcf732, v119
	v_fma_f32 v71, v100, s19, -v127
	v_sub_f32_e32 v103, v44, v53
	v_add_f32_e32 v26, v71, v26
	v_mov_b32_e32 v71, v131
	v_fmac_f32_e32 v71, 0x3f7ee86f, v103
	v_mul_f32_e32 v137, 0xbeb8f4ab, v116
	v_add_f32_e32 v27, v71, v27
	v_mul_f32_e32 v141, 0x3f6eb680, v119
	v_fma_f32 v71, v100, s18, -v137
	v_add_f32_e32 v69, v71, v69
	v_mov_b32_e32 v71, v141
	v_sub_f32_e32 v117, v47, v25
	v_fmac_f32_e32 v71, 0xbeb8f4ab, v103
	v_add_f32_e32 v102, v24, v46
	v_add_f32_e32 v121, v25, v47
	s_mov_b32 s21, 0x3f3d2fb0
	v_mul_f32_e32 v132, 0xbf2c7751, v117
	v_add_f32_e32 v70, v71, v70
	v_mul_f32_e32 v135, 0x3f3d2fb0, v121
	v_fma_f32 v71, v102, s21, -v132
	v_sub_f32_e32 v105, v46, v24
	v_add_f32_e32 v26, v71, v26
	v_mov_b32_e32 v71, v135
	v_fmac_f32_e32 v71, 0xbf2c7751, v105
	s_mov_b32 s20, 0xbf7ba420
	v_mul_f32_e32 v142, 0xbe3c28d5, v117
	v_add_f32_e32 v27, v71, v27
	v_mul_f32_e32 v145, 0xbf7ba420, v121
	v_fma_f32 v71, v102, s20, -v142
	v_add_f32_e32 v69, v71, v69
	v_mov_b32_e32 v71, v145
	v_sub_f32_e32 v120, v41, v39
	v_fmac_f32_e32 v71, 0xbe3c28d5, v105
	v_add_f32_e32 v104, v38, v40
	v_add_f32_e32 v123, v39, v41
	v_mul_f32_e32 v136, 0xbe3c28d5, v120
	v_add_f32_e32 v70, v71, v70
	v_mul_f32_e32 v140, 0xbf7ba420, v123
	v_fma_f32 v71, v104, s20, -v136
	v_sub_f32_e32 v107, v40, v38
	v_add_f32_e32 v26, v71, v26
	v_mov_b32_e32 v71, v140
	v_fmac_f32_e32 v71, 0xbe3c28d5, v107
	v_mul_f32_e32 v144, 0x3f2c7751, v120
	v_add_f32_e32 v27, v71, v27
	v_mul_f32_e32 v147, 0x3f3d2fb0, v123
	v_fma_f32 v71, v104, s21, -v144
	v_add_f32_e32 v71, v71, v69
	v_mov_b32_e32 v69, v147
	v_sub_f32_e32 v122, v43, v37
	v_fmac_f32_e32 v69, 0x3f2c7751, v107
	v_add_f32_e32 v106, v36, v42
	v_add_f32_e32 v124, v37, v43
	v_mul_f32_e32 v139, 0x3f65296c, v122
	v_add_f32_e32 v72, v69, v70
	v_mul_f32_e32 v143, 0x3ee437d1, v124
	v_fma_f32 v69, v106, s17, -v139
	v_sub_f32_e32 v108, v42, v36
	v_add_f32_e32 v69, v69, v26
	v_mov_b32_e32 v26, v143
	v_fmac_f32_e32 v26, 0x3f65296c, v108
	v_mul_f32_e32 v146, 0xbf763a35, v122
	v_add_f32_e32 v70, v26, v27
	v_mul_f32_e32 v148, 0xbe8c1d8e, v124
	v_fma_f32 v26, v106, s16, -v146
	v_add_f32_e32 v71, v26, v71
	v_mov_b32_e32 v26, v148
	v_fmac_f32_e32 v26, 0xbf763a35, v108
	v_add_f32_e32 v72, v26, v72
	s_barrier
	s_and_saveexec_b64 s[8:9], s[0:1]
	s_cbranch_execz .LBB0_17
; %bb.16:
	v_mul_f32_e32 v83, 0xbf1a4643, v93
	v_mul_f32_e32 v84, 0xbf4c4adb, v95
	;; [unrolled: 1-line block ×3, first 2 shown]
	v_add_f32_e32 v75, v83, v75
	v_mul_f32_e32 v150, 0xbf06c442, v95
	v_mul_f32_e32 v152, 0x3f763a35, v97
	;; [unrolled: 1-line block ×3, first 2 shown]
	v_sub_f32_e32 v76, v76, v84
	v_add_f32_e32 v75, v67, v75
	v_add_f32_e32 v77, v151, v77
	v_mul_f32_e32 v154, 0x3f65296c, v97
	v_mul_f32_e32 v156, 0xbeb8f4ab, v99
	;; [unrolled: 1-line block ×3, first 2 shown]
	v_sub_f32_e32 v74, v74, v150
	v_add_f32_e32 v76, v68, v76
	v_sub_f32_e32 v78, v78, v152
	v_add_f32_e32 v75, v77, v75
	v_add_f32_e32 v77, v155, v79
	v_mul_f32_e32 v158, 0xbf7ee86f, v99
	v_mul_f32_e32 v160, 0xbf06c442, v101
	v_mul_f32_e32 v163, 0x3dbcf732, v100
	v_add_f32_e32 v74, v68, v74
	v_sub_f32_e32 v129, v129, v154
	v_add_f32_e32 v76, v78, v76
	v_sub_f32_e32 v78, v80, v156
	v_add_f32_e32 v75, v77, v75
	v_add_f32_e32 v77, v159, v125
	v_mul_f32_e32 v162, 0x3f4c4adb, v101
	v_mul_f32_e32 v164, 0x3f7ee86f, v103
	v_mul_f32_e32 v167, 0x3f3d2fb0, v102
	v_add_f32_e32 v74, v129, v74
	;; [unrolled: 9-line block ×4, first 2 shown]
	v_sub_f32_e32 v129, v141, v166
	v_add_f32_e32 v76, v78, v76
	v_sub_f32_e32 v78, v135, v168
	v_add_f32_e32 v75, v77, v75
	v_add_f32_e32 v77, v171, v136
	v_mul_f32_e32 v174, 0x3f2c7751, v107
	v_mul_f32_e32 v176, 0x3f65296c, v108
	v_add_f32_e32 v74, v129, v74
	v_sub_f32_e32 v129, v145, v170
	v_add_f32_e32 v76, v78, v76
	v_sub_f32_e32 v78, v140, v172
	v_add_f32_e32 v75, v77, v75
	v_add_f32_e32 v77, v175, v139
	v_mul_f32_e32 v83, 0xbe8c1d8e, v111
	v_mul_f32_e32 v178, 0xbf763a35, v108
	v_add_f32_e32 v74, v129, v74
	v_sub_f32_e32 v129, v147, v174
	v_add_f32_e32 v76, v78, v76
	v_sub_f32_e32 v78, v143, v176
	v_add_f32_e32 v75, v77, v75
	v_mov_b32_e32 v77, v83
	v_mul_f32_e32 v84, 0xbf59a7d5, v113
	v_mul_f32_e32 v149, 0xbf59a7d5, v93
	v_add_f32_e32 v74, v129, v74
	v_sub_f32_e32 v129, v148, v178
	v_add_f32_e32 v76, v78, v76
	v_fmac_f32_e32 v77, 0x3f763a35, v95
	v_mov_b32_e32 v78, v84
	v_mul_f32_e32 v153, 0x3ee437d1, v94
	v_add_f32_e32 v74, v129, v74
	v_add_f32_e32 v73, v149, v73
	;; [unrolled: 1-line block ×3, first 2 shown]
	v_fmac_f32_e32 v78, 0xbf06c442, v97
	v_mul_f32_e32 v129, 0x3f3d2fb0, v115
	v_mul_f32_e32 v157, 0x3dbcf732, v96
	v_add_f32_e32 v73, v67, v73
	v_add_f32_e32 v126, v153, v126
	;; [unrolled: 1-line block ×3, first 2 shown]
	v_mov_b32_e32 v78, v129
	v_add_f32_e32 v73, v126, v73
	v_add_f32_e32 v126, v157, v130
	v_fmac_f32_e32 v78, 0xbf2c7751, v99
	v_mul_f32_e32 v130, 0x3ee437d1, v118
	v_add_f32_e32 v77, v78, v77
	v_mov_b32_e32 v78, v130
	v_fmac_f32_e32 v78, 0x3f65296c, v101
	v_mul_f32_e32 v131, 0xbf7ba420, v119
	v_add_f32_e32 v77, v78, v77
	v_mov_b32_e32 v78, v131
	v_fmac_f32_e32 v78, 0x3e3c28d5, v103
	v_mul_f32_e32 v132, 0x3dbcf732, v121
	v_mul_f32_e32 v161, 0xbf1a4643, v98
	v_add_f32_e32 v77, v78, v77
	v_mov_b32_e32 v78, v132
	v_add_f32_e32 v73, v126, v73
	v_add_f32_e32 v126, v161, v133
	v_fmac_f32_e32 v78, 0xbf7ee86f, v105
	v_mul_f32_e32 v133, 0x3f6eb680, v123
	v_add_f32_e32 v77, v78, v77
	v_mov_b32_e32 v78, v133
	v_fmac_f32_e32 v78, 0x3eb8f4ab, v107
	v_mul_f32_e32 v134, 0xbf1a4643, v124
	v_add_f32_e32 v77, v78, v77
	v_mov_b32_e32 v78, v134
	;; [unrolled: 4-line block ×3, first 2 shown]
	v_mul_f32_e32 v136, 0x3f06c442, v110
	v_mul_f32_e32 v165, 0x3f6eb680, v100
	v_fmac_f32_e32 v77, 0xbe8c1d8e, v93
	v_mov_b32_e32 v79, v136
	v_add_f32_e32 v73, v126, v73
	v_add_f32_e32 v126, v165, v137
	;; [unrolled: 1-line block ×3, first 2 shown]
	v_fmac_f32_e32 v79, 0xbf59a7d5, v94
	v_mul_f32_e32 v137, 0x3f2c7751, v112
	v_add_f32_e32 v77, v79, v77
	v_mov_b32_e32 v79, v137
	v_fmac_f32_e32 v79, 0x3f3d2fb0, v96
	v_mul_f32_e32 v138, 0xbf65296c, v114
	v_add_f32_e32 v77, v79, v77
	v_mov_b32_e32 v79, v138
	;; [unrolled: 4-line block ×4, first 2 shown]
	v_fmac_f32_e32 v79, 0x3dbcf732, v102
	v_mul_f32_e32 v141, 0xbeb8f4ab, v120
	v_mul_f32_e32 v169, 0xbf7ba420, v102
	v_add_f32_e32 v77, v79, v77
	v_mov_b32_e32 v79, v141
	v_add_f32_e32 v73, v126, v73
	v_add_f32_e32 v126, v169, v142
	v_fmac_f32_e32 v79, 0x3f6eb680, v104
	v_mul_f32_e32 v142, 0xbf4c4adb, v122
	v_add_f32_e32 v77, v79, v77
	v_mov_b32_e32 v79, v142
	v_mul_f32_e32 v173, 0x3f3d2fb0, v104
	v_fmac_f32_e32 v79, 0xbf1a4643, v106
	v_mul_f32_e32 v143, 0x3dbcf732, v111
	v_add_f32_e32 v73, v126, v73
	v_add_f32_e32 v126, v173, v144
	;; [unrolled: 1-line block ×3, first 2 shown]
	v_mov_b32_e32 v79, v143
	v_mul_f32_e32 v144, 0xbf7ba420, v113
	v_fmac_f32_e32 v79, 0x3f7ee86f, v95
	v_mov_b32_e32 v80, v144
	v_add_f32_e32 v79, v68, v79
	v_fmac_f32_e32 v80, 0x3e3c28d5, v97
	v_mul_f32_e32 v145, 0xbe8c1d8e, v115
	v_mul_f32_e32 v177, 0xbe8c1d8e, v106
	v_add_f32_e32 v79, v80, v79
	v_mov_b32_e32 v80, v145
	v_add_f32_e32 v73, v126, v73
	v_add_f32_e32 v126, v177, v146
	v_fmac_f32_e32 v80, 0xbf763a35, v99
	v_mul_f32_e32 v146, 0x3f6eb680, v118
	v_add_f32_e32 v79, v80, v79
	v_mov_b32_e32 v80, v146
	v_fmac_f32_e32 v80, 0xbeb8f4ab, v101
	v_mul_f32_e32 v147, 0x3ee437d1, v119
	v_add_f32_e32 v79, v80, v79
	v_mov_b32_e32 v80, v147
	v_add_f32_e32 v29, v29, v68
	v_fmac_f32_e32 v80, 0x3f65296c, v103
	v_mul_f32_e32 v148, 0xbf59a7d5, v121
	v_add_f32_e32 v29, v31, v29
	v_add_f32_e32 v79, v80, v79
	v_mov_b32_e32 v80, v148
	v_add_f32_e32 v29, v33, v29
	v_fmac_f32_e32 v80, 0x3f06c442, v105
	v_mul_f32_e32 v149, 0xbf1a4643, v123
	v_add_f32_e32 v29, v35, v29
	;; [unrolled: 6-line block ×4, first 2 shown]
	v_add_f32_e32 v80, v80, v79
	v_mov_b32_e32 v79, v151
	v_mul_f32_e32 v152, 0xbe3c28d5, v110
	v_add_f32_e32 v29, v37, v29
	v_mul_f32_e32 v179, 0xbf7ba420, v111
	v_fmac_f32_e32 v79, 0x3dbcf732, v93
	v_mov_b32_e32 v125, v152
	v_add_f32_e32 v29, v39, v29
	v_mov_b32_e32 v26, v179
	v_mul_f32_e32 v180, 0x3f6eb680, v113
	v_add_f32_e32 v79, v67, v79
	v_fmac_f32_e32 v125, 0xbf7ba420, v94
	v_mul_f32_e32 v153, 0x3f763a35, v112
	v_add_f32_e32 v25, v25, v29
	v_fmac_f32_e32 v26, 0x3e3c28d5, v95
	v_mov_b32_e32 v27, v180
	v_add_f32_e32 v79, v125, v79
	v_mov_b32_e32 v125, v153
	v_add_f32_e32 v25, v54, v25
	v_add_f32_e32 v26, v68, v26
	v_fmac_f32_e32 v27, 0xbeb8f4ab, v97
	v_mul_f32_e32 v181, 0xbf59a7d5, v115
	v_fmac_f32_e32 v125, 0xbe8c1d8e, v96
	v_mul_f32_e32 v154, 0x3eb8f4ab, v114
	v_add_f32_e32 v25, v52, v25
	v_add_f32_e32 v26, v27, v26
	v_mov_b32_e32 v27, v181
	v_add_f32_e32 v79, v125, v79
	v_mov_b32_e32 v125, v154
	v_add_f32_e32 v25, v50, v25
	v_fmac_f32_e32 v27, 0x3f06c442, v99
	v_mul_f32_e32 v182, 0x3f3d2fb0, v118
	v_fmac_f32_e32 v125, 0x3f6eb680, v98
	v_mul_f32_e32 v155, 0xbf65296c, v116
	v_add_f32_e32 v1, v1, v25
	v_add_f32_e32 v26, v27, v26
	v_mov_b32_e32 v27, v182
	v_add_f32_e32 v79, v125, v79
	v_mov_b32_e32 v125, v155
	v_add_f32_e32 v1, v3, v1
	v_add_f32_e32 v3, v28, v67
	v_fmac_f32_e32 v27, 0xbf2c7751, v101
	v_mul_f32_e32 v183, 0xbf1a4643, v119
	v_fmac_f32_e32 v125, 0x3ee437d1, v100
	v_mul_f32_e32 v156, 0xbf06c442, v117
	v_add_f32_e32 v3, v30, v3
	v_add_f32_e32 v26, v27, v26
	v_mov_b32_e32 v27, v183
	v_add_f32_e32 v79, v125, v79
	v_mov_b32_e32 v125, v156
	v_add_f32_e32 v3, v32, v3
	v_fmac_f32_e32 v27, 0x3f4c4adb, v103
	v_mul_f32_e32 v184, 0x3ee437d1, v121
	v_fmac_f32_e32 v125, 0xbf59a7d5, v102
	v_mul_f32_e32 v157, 0x3f4c4adb, v120
	v_add_f32_e32 v3, v34, v3
	v_add_f32_e32 v26, v27, v26
	v_mov_b32_e32 v27, v184
	v_add_f32_e32 v79, v125, v79
	v_mov_b32_e32 v125, v157
	;; [unrolled: 10-line block ×4, first 2 shown]
	v_mul_f32_e32 v160, 0xbf1a4643, v113
	v_add_f32_e32 v3, v36, v3
	v_fmac_f32_e32 v27, 0xbf7ee86f, v108
	v_mul_f32_e32 v187, 0xbe3c28d5, v109
	v_add_f32_e32 v73, v126, v73
	v_fmac_f32_e32 v125, 0x3f65296c, v95
	v_mov_b32_e32 v126, v160
	v_add_f32_e32 v3, v38, v3
	v_add_f32_e32 v27, v27, v26
	v_mov_b32_e32 v26, v187
	v_mul_f32_e32 v188, 0x3eb8f4ab, v110
	v_add_f32_e32 v125, v68, v125
	v_fmac_f32_e32 v126, 0x3f4c4adb, v97
	v_mul_f32_e32 v161, 0xbf7ba420, v115
	v_add_f32_e32 v3, v24, v3
	v_fmac_f32_e32 v26, 0xbf7ba420, v93
	v_mov_b32_e32 v189, v188
	v_add_f32_e32 v125, v126, v125
	v_mov_b32_e32 v126, v161
	v_add_f32_e32 v3, v53, v3
	v_add_f32_e32 v26, v67, v26
	v_fmac_f32_e32 v189, 0x3f6eb680, v94
	v_fmac_f32_e32 v126, 0xbe3c28d5, v99
	v_mul_f32_e32 v162, 0xbe8c1d8e, v118
	v_add_f32_e32 v3, v51, v3
	v_add_f32_e32 v26, v189, v26
	v_mul_f32_e32 v189, 0xbf06c442, v112
	v_add_f32_e32 v125, v126, v125
	v_mov_b32_e32 v126, v162
	v_add_f32_e32 v3, v49, v3
	v_mov_b32_e32 v190, v189
	v_fmac_f32_e32 v126, 0xbf763a35, v101
	v_mul_f32_e32 v163, 0x3f3d2fb0, v119
	v_add_f32_e32 v0, v0, v3
	v_fmac_f32_e32 v179, 0xbe3c28d5, v95
	v_fmac_f32_e32 v190, 0xbf59a7d5, v96
	v_add_f32_e32 v125, v126, v125
	v_mov_b32_e32 v126, v163
	v_add_f32_e32 v0, v2, v0
	v_add_f32_e32 v2, v68, v179
	v_fmac_f32_e32 v180, 0x3eb8f4ab, v97
	v_add_f32_e32 v26, v190, v26
	v_mul_f32_e32 v190, 0x3f2c7751, v114
	v_fmac_f32_e32 v126, 0xbf2c7751, v103
	v_mul_f32_e32 v164, 0x3f6eb680, v121
	v_add_f32_e32 v2, v180, v2
	v_fmac_f32_e32 v181, 0xbf06c442, v99
	v_mov_b32_e32 v191, v190
	v_add_f32_e32 v125, v126, v125
	v_mov_b32_e32 v126, v164
	v_add_f32_e32 v2, v181, v2
	v_fmac_f32_e32 v182, 0x3f2c7751, v101
	v_fmac_f32_e32 v191, 0x3f3d2fb0, v98
	;; [unrolled: 1-line block ×3, first 2 shown]
	v_mul_f32_e32 v165, 0x3dbcf732, v123
	v_add_f32_e32 v2, v182, v2
	v_fmac_f32_e32 v183, 0xbf4c4adb, v103
	v_add_f32_e32 v26, v191, v26
	v_mul_f32_e32 v191, 0xbf4c4adb, v116
	v_add_f32_e32 v125, v126, v125
	v_mov_b32_e32 v126, v165
	v_add_f32_e32 v2, v183, v2
	v_fmac_f32_e32 v184, 0x3f65296c, v105
	v_mov_b32_e32 v192, v191
	v_fmac_f32_e32 v126, 0x3f7ee86f, v107
	v_mul_f32_e32 v166, 0xbf59a7d5, v124
	v_add_f32_e32 v2, v184, v2
	v_fmac_f32_e32 v185, 0xbf763a35, v107
	v_fmac_f32_e32 v192, 0xbf1a4643, v100
	v_add_f32_e32 v125, v126, v125
	v_mov_b32_e32 v126, v166
	v_add_f32_e32 v2, v185, v2
	v_fmac_f32_e32 v186, 0x3f7ee86f, v108
	v_add_f32_e32 v26, v192, v26
	v_mul_f32_e32 v192, 0x3f65296c, v117
	v_fmac_f32_e32 v126, 0x3f06c442, v108
	v_mul_f32_e32 v167, 0xbf65296c, v109
	v_add_f32_e32 v3, v186, v2
	v_fma_f32 v2, v93, s20, -v187
	v_mov_b32_e32 v193, v192
	v_add_f32_e32 v126, v126, v125
	v_mov_b32_e32 v125, v167
	v_mul_f32_e32 v168, 0xbf4c4adb, v110
	v_add_f32_e32 v2, v67, v2
	v_fma_f32 v24, v94, s18, -v188
	v_fmac_f32_e32 v193, 0x3ee437d1, v102
	v_fmac_f32_e32 v125, 0x3ee437d1, v93
	v_mov_b32_e32 v127, v168
	v_add_f32_e32 v2, v24, v2
	v_fma_f32 v24, v96, s11, -v189
	v_add_f32_e32 v26, v193, v26
	v_mul_f32_e32 v193, 0xbf763a35, v120
	v_add_f32_e32 v125, v67, v125
	v_fmac_f32_e32 v127, 0xbf1a4643, v94
	v_mul_f32_e32 v169, 0x3e3c28d5, v112
	v_add_f32_e32 v2, v24, v2
	v_fma_f32 v24, v98, s21, -v190
	v_mov_b32_e32 v194, v193
	v_add_f32_e32 v125, v127, v125
	v_mov_b32_e32 v127, v169
	v_add_f32_e32 v2, v24, v2
	v_fma_f32 v24, v100, s10, -v191
	v_fmac_f32_e32 v194, 0xbe8c1d8e, v104
	v_fmac_f32_e32 v127, 0xbf7ba420, v96
	v_mul_f32_e32 v170, 0x3f763a35, v114
	v_add_f32_e32 v2, v24, v2
	v_fma_f32 v24, v102, s17, -v192
	v_add_f32_e32 v26, v194, v26
	v_mul_f32_e32 v194, 0x3f7ee86f, v122
	v_add_f32_e32 v125, v127, v125
	v_mov_b32_e32 v127, v170
	v_add_f32_e32 v2, v24, v2
	v_fma_f32 v24, v104, s16, -v193
	v_fmac_f32_e32 v127, 0xbe8c1d8e, v98
	v_mul_f32_e32 v171, 0x3f2c7751, v116
	v_add_f32_e32 v2, v24, v2
	v_fma_f32 v24, v106, s19, -v194
	v_fmac_f32_e32 v83, 0xbf763a35, v95
	v_add_f32_e32 v125, v127, v125
	v_mov_b32_e32 v127, v171
	v_add_f32_e32 v2, v24, v2
	v_add_f32_e32 v24, v68, v83
	v_fmac_f32_e32 v84, 0x3f06c442, v97
	v_fmac_f32_e32 v127, 0x3f3d2fb0, v100
	v_mul_f32_e32 v172, 0xbeb8f4ab, v117
	v_add_f32_e32 v24, v84, v24
	v_fmac_f32_e32 v129, 0x3f2c7751, v99
	v_add_f32_e32 v125, v127, v125
	v_mov_b32_e32 v127, v172
	v_add_f32_e32 v24, v129, v24
	v_fmac_f32_e32 v130, 0xbf65296c, v101
	v_fmac_f32_e32 v127, 0x3f6eb680, v102
	v_mul_f32_e32 v173, 0xbf7ee86f, v120
	v_add_f32_e32 v24, v130, v24
	v_fmac_f32_e32 v131, 0xbe3c28d5, v103
	v_add_f32_e32 v125, v127, v125
	v_mov_b32_e32 v127, v173
	;; [unrolled: 8-line block ×3, first 2 shown]
	v_add_f32_e32 v24, v133, v24
	v_fmac_f32_e32 v134, 0xbf4c4adb, v108
	v_fmac_f32_e32 v127, 0xbf59a7d5, v106
	v_mul_f32_e32 v175, 0x3f3d2fb0, v111
	v_add_f32_e32 v25, v134, v24
	v_fma_f32 v24, v93, s16, -v135
	v_add_f32_e32 v125, v127, v125
	v_mov_b32_e32 v127, v175
	v_mul_f32_e32 v176, 0x3dbcf732, v113
	v_add_f32_e32 v24, v67, v24
	v_fma_f32 v28, v94, s11, -v136
	v_fmac_f32_e32 v127, 0x3f2c7751, v95
	v_mov_b32_e32 v128, v176
	v_add_f32_e32 v24, v28, v24
	v_fma_f32 v28, v96, s21, -v137
	v_add_f32_e32 v127, v68, v127
	v_fmac_f32_e32 v128, 0x3f7ee86f, v97
	v_mul_f32_e32 v177, 0xbf1a4643, v115
	v_add_f32_e32 v24, v28, v24
	v_fma_f32 v28, v98, s17, -v138
	v_add_f32_e32 v127, v128, v127
	v_mov_b32_e32 v128, v177
	v_add_f32_e32 v24, v28, v24
	v_fma_f32 v28, v100, s20, -v139
	v_mov_b32_e32 v195, v194
	v_fmac_f32_e32 v128, 0x3f4c4adb, v99
	v_mul_f32_e32 v178, 0xbf7ba420, v118
	v_add_f32_e32 v24, v28, v24
	v_fma_f32 v28, v102, s19, -v140
	v_fmac_f32_e32 v195, 0x3dbcf732, v106
	v_add_f32_e32 v127, v128, v127
	v_mov_b32_e32 v128, v178
	v_add_f32_e32 v24, v28, v24
	v_fma_f32 v28, v104, s18, -v141
	v_add_f32_e32 v26, v195, v26
	v_fmac_f32_e32 v128, 0x3e3c28d5, v101
	v_mul_f32_e32 v195, 0xbf59a7d5, v119
	v_add_f32_e32 v24, v28, v24
	v_fma_f32 v28, v106, s10, -v142
	v_fmac_f32_e32 v143, 0xbf7ee86f, v95
	v_add_f32_e32 v127, v128, v127
	v_mov_b32_e32 v128, v195
	v_add_f32_e32 v24, v28, v24
	v_add_f32_e32 v28, v68, v143
	v_fmac_f32_e32 v144, 0xbe3c28d5, v97
	v_fmac_f32_e32 v128, 0xbf06c442, v103
	v_mul_f32_e32 v196, 0xbe8c1d8e, v121
	v_add_f32_e32 v28, v144, v28
	v_fmac_f32_e32 v145, 0x3f763a35, v99
	v_add_f32_e32 v127, v128, v127
	v_mov_b32_e32 v128, v196
	v_add_f32_e32 v28, v145, v28
	v_fmac_f32_e32 v146, 0x3eb8f4ab, v101
	v_fmac_f32_e32 v128, 0xbf763a35, v105
	v_mul_f32_e32 v197, 0x3ee437d1, v123
	v_add_f32_e32 v28, v146, v28
	v_fmac_f32_e32 v147, 0xbf65296c, v103
	v_add_f32_e32 v127, v128, v127
	v_mov_b32_e32 v128, v197
	;; [unrolled: 8-line block ×3, first 2 shown]
	v_add_f32_e32 v28, v149, v28
	v_fmac_f32_e32 v150, 0x3f2c7751, v108
	v_fmac_f32_e32 v128, 0xbeb8f4ab, v108
	v_mul_f32_e32 v199, 0xbf2c7751, v109
	v_add_f32_e32 v29, v150, v28
	v_fma_f32 v28, v93, s19, -v151
	v_add_f32_e32 v128, v128, v127
	v_mov_b32_e32 v127, v199
	v_mul_f32_e32 v200, 0xbf7ee86f, v110
	v_add_f32_e32 v28, v67, v28
	v_fma_f32 v30, v94, s20, -v152
	v_fmac_f32_e32 v127, 0x3f3d2fb0, v93
	v_mov_b32_e32 v201, v200
	v_add_f32_e32 v28, v30, v28
	v_fma_f32 v30, v96, s16, -v153
	v_add_f32_e32 v127, v67, v127
	v_fmac_f32_e32 v201, 0x3dbcf732, v94
	v_add_f32_e32 v28, v30, v28
	v_fma_f32 v30, v98, s18, -v154
	v_add_f32_e32 v127, v201, v127
	v_mul_f32_e32 v201, 0xbf4c4adb, v112
	v_add_f32_e32 v28, v30, v28
	v_fma_f32 v30, v100, s17, -v155
	v_mov_b32_e32 v202, v201
	v_add_f32_e32 v28, v30, v28
	v_fma_f32 v30, v102, s11, -v156
	v_fmac_f32_e32 v202, 0xbf1a4643, v96
	v_add_f32_e32 v28, v30, v28
	v_fma_f32 v30, v104, s10, -v157
	v_add_f32_e32 v127, v202, v127
	v_mul_f32_e32 v202, 0xbe3c28d5, v114
	v_add_f32_e32 v28, v30, v28
	v_fma_f32 v30, v106, s21, -v158
	v_fmac_f32_e32 v159, 0xbf65296c, v95
	v_mov_b32_e32 v203, v202
	v_add_f32_e32 v28, v30, v28
	v_add_f32_e32 v30, v68, v159
	v_fmac_f32_e32 v160, 0xbf4c4adb, v97
	v_fmac_f32_e32 v203, 0xbf7ba420, v98
	v_add_f32_e32 v30, v160, v30
	v_fmac_f32_e32 v161, 0x3e3c28d5, v99
	v_add_f32_e32 v127, v203, v127
	v_mul_f32_e32 v203, 0x3f06c442, v116
	v_add_f32_e32 v30, v161, v30
	v_fmac_f32_e32 v162, 0x3f763a35, v101
	v_mov_b32_e32 v204, v203
	v_add_f32_e32 v30, v162, v30
	v_fmac_f32_e32 v163, 0x3f2c7751, v103
	v_fmac_f32_e32 v204, 0xbf59a7d5, v100
	v_add_f32_e32 v30, v163, v30
	v_fmac_f32_e32 v164, 0xbeb8f4ab, v105
	v_add_f32_e32 v127, v204, v127
	v_mul_f32_e32 v204, 0x3f763a35, v117
	v_add_f32_e32 v30, v164, v30
	v_fmac_f32_e32 v165, 0xbf7ee86f, v107
	v_mov_b32_e32 v205, v204
	v_add_f32_e32 v30, v165, v30
	v_fmac_f32_e32 v166, 0xbf06c442, v108
	v_fmac_f32_e32 v205, 0xbe8c1d8e, v102
	v_add_f32_e32 v31, v166, v30
	v_fma_f32 v30, v93, s17, -v167
	v_add_f32_e32 v127, v205, v127
	v_mul_f32_e32 v205, 0x3f65296c, v120
	v_add_f32_e32 v30, v67, v30
	v_fma_f32 v32, v94, s10, -v168
	v_mov_b32_e32 v206, v205
	v_add_f32_e32 v30, v32, v30
	v_fma_f32 v32, v96, s20, -v169
	v_fmac_f32_e32 v206, 0x3ee437d1, v104
	v_add_f32_e32 v30, v32, v30
	v_fma_f32 v32, v98, s16, -v170
	v_add_f32_e32 v127, v206, v127
	v_mul_f32_e32 v206, 0x3eb8f4ab, v122
	v_add_f32_e32 v30, v32, v30
	v_fma_f32 v32, v100, s21, -v171
	v_mov_b32_e32 v207, v206
	v_add_f32_e32 v30, v32, v30
	v_fma_f32 v32, v102, s18, -v172
	v_fmac_f32_e32 v207, 0x3f6eb680, v106
	v_add_f32_e32 v30, v32, v30
	v_fma_f32 v32, v104, s19, -v173
	v_add_f32_e32 v127, v207, v127
	v_mul_f32_e32 v207, 0x3f6eb680, v111
	v_add_f32_e32 v30, v32, v30
	v_fma_f32 v32, v106, s11, -v174
	v_fmac_f32_e32 v175, 0xbf2c7751, v95
	v_mov_b32_e32 v111, v207
	v_mul_f32_e32 v113, 0x3f3d2fb0, v113
	v_add_f32_e32 v30, v32, v30
	v_add_f32_e32 v32, v68, v175
	v_fmac_f32_e32 v176, 0xbf7ee86f, v97
	v_fmac_f32_e32 v111, 0x3eb8f4ab, v95
	v_mov_b32_e32 v208, v113
	v_add_f32_e32 v32, v176, v32
	v_fmac_f32_e32 v177, 0xbf4c4adb, v99
	v_add_f32_e32 v111, v68, v111
	v_fmac_f32_e32 v208, 0x3f2c7751, v97
	v_mul_f32_e32 v115, 0x3ee437d1, v115
	v_add_f32_e32 v32, v177, v32
	v_fmac_f32_e32 v178, 0xbe3c28d5, v101
	v_add_f32_e32 v111, v208, v111
	v_mov_b32_e32 v208, v115
	v_add_f32_e32 v32, v178, v32
	v_fmac_f32_e32 v195, 0x3f06c442, v103
	v_fmac_f32_e32 v208, 0x3f65296c, v99
	v_mul_f32_e32 v118, 0x3dbcf732, v118
	v_add_f32_e32 v32, v195, v32
	v_fmac_f32_e32 v196, 0x3f763a35, v105
	v_add_f32_e32 v111, v208, v111
	v_mov_b32_e32 v208, v118
	v_add_f32_e32 v32, v196, v32
	v_fmac_f32_e32 v197, 0x3f65296c, v107
	v_fmac_f32_e32 v208, 0x3f7ee86f, v101
	v_mul_f32_e32 v119, 0xbe8c1d8e, v119
	v_add_f32_e32 v32, v197, v32
	v_fmac_f32_e32 v198, 0x3eb8f4ab, v108
	v_add_f32_e32 v111, v208, v111
	v_mov_b32_e32 v208, v119
	v_add_f32_e32 v33, v198, v32
	v_fma_f32 v32, v93, s21, -v199
	v_fmac_f32_e32 v208, 0x3f763a35, v103
	v_mul_f32_e32 v121, 0xbf1a4643, v121
	v_add_f32_e32 v32, v67, v32
	v_fma_f32 v34, v94, s19, -v200
	v_add_f32_e32 v111, v208, v111
	v_mov_b32_e32 v208, v121
	v_add_f32_e32 v32, v34, v32
	v_fma_f32 v34, v96, s10, -v201
	v_fmac_f32_e32 v208, 0x3f4c4adb, v105
	v_mul_f32_e32 v123, 0xbf59a7d5, v123
	v_add_f32_e32 v32, v34, v32
	v_fma_f32 v34, v98, s20, -v202
	;; [unrolled: 8-line block ×4, first 2 shown]
	v_fmac_f32_e32 v207, 0xbeb8f4ab, v95
	v_add_f32_e32 v111, v208, v111
	v_mov_b32_e32 v208, v109
	v_mul_f32_e32 v209, 0xbf2c7751, v110
	v_add_f32_e32 v32, v34, v32
	v_add_f32_e32 v34, v68, v207
	v_fmac_f32_e32 v113, 0xbf2c7751, v97
	v_fmac_f32_e32 v208, 0x3f6eb680, v93
	v_mov_b32_e32 v110, v209
	v_add_f32_e32 v34, v113, v34
	v_fmac_f32_e32 v115, 0xbf65296c, v99
	v_add_f32_e32 v208, v67, v208
	v_fmac_f32_e32 v110, 0x3f3d2fb0, v94
	v_mul_f32_e32 v112, 0xbf65296c, v112
	v_add_f32_e32 v34, v115, v34
	v_fmac_f32_e32 v118, 0xbf7ee86f, v101
	v_add_f32_e32 v110, v110, v208
	v_mov_b32_e32 v208, v112
	v_add_f32_e32 v34, v118, v34
	v_fmac_f32_e32 v119, 0xbf763a35, v103
	v_fmac_f32_e32 v208, 0x3ee437d1, v96
	v_mul_f32_e32 v114, 0xbf7ee86f, v114
	v_add_f32_e32 v34, v119, v34
	v_fmac_f32_e32 v121, 0xbf4c4adb, v105
	v_add_f32_e32 v110, v208, v110
	v_mov_b32_e32 v208, v114
	v_add_f32_e32 v34, v121, v34
	v_fmac_f32_e32 v123, 0xbf06c442, v107
	v_fmac_f32_e32 v208, 0x3dbcf732, v98
	v_mul_f32_e32 v116, 0xbf763a35, v116
	v_add_f32_e32 v34, v123, v34
	v_fmac_f32_e32 v124, 0xbe3c28d5, v108
	v_add_f32_e32 v110, v208, v110
	v_mov_b32_e32 v208, v116
	v_add_f32_e32 v35, v124, v34
	v_fma_f32 v34, v93, s18, -v109
	v_fmac_f32_e32 v208, 0xbe8c1d8e, v100
	v_mul_f32_e32 v117, 0xbf4c4adb, v117
	v_add_f32_e32 v34, v67, v34
	v_fma_f32 v36, v94, s21, -v209
	v_add_f32_e32 v110, v208, v110
	v_mov_b32_e32 v208, v117
	v_add_f32_e32 v34, v36, v34
	v_fma_f32 v36, v96, s17, -v112
	v_fmac_f32_e32 v208, 0xbf1a4643, v102
	v_mul_f32_e32 v120, 0xbf06c442, v120
	v_add_f32_e32 v34, v36, v34
	v_fma_f32 v36, v98, s19, -v114
	;; [unrolled: 8-line block ×3, first 2 shown]
	v_add_f32_e32 v110, v208, v110
	v_mov_b32_e32 v208, v122
	v_add_f32_e32 v34, v36, v34
	v_fma_f32 v36, v104, s11, -v120
	v_fmac_f32_e32 v208, 0xbf7ba420, v106
	v_add_f32_e32 v34, v36, v34
	v_fma_f32 v36, v106, s20, -v122
	v_add_f32_e32 v110, v208, v110
	v_add_f32_e32 v34, v36, v34
	v_lshl_add_u32 v36, v211, 3, v210
	ds_write2_b64 v36, v[0:1], v[110:111] offset1:1
	ds_write2_b64 v36, v[127:128], v[125:126] offset0:2 offset1:3
	ds_write2_b64 v36, v[79:80], v[77:78] offset0:4 offset1:5
	;; [unrolled: 1-line block ×7, first 2 shown]
	ds_write_b64 v36, v[34:35] offset:128
.LBB0_17:
	s_or_b64 exec, exec, s[8:9]
	s_waitcnt lgkmcnt(0)
	s_barrier
	ds_read2_b64 v[24:27], v85 offset1:34
	ds_read2_b64 v[0:3], v85 offset0:136 offset1:187
	ds_read2_b64 v[36:39], v85 offset0:221 offset1:255
	;; [unrolled: 1-line block ×3, first 2 shown]
	v_add_u32_e32 v32, 0x800, v85
	ds_read2_b64 v[32:35], v32 offset0:33 offset1:67
	s_and_saveexec_b64 s[8:9], s[2:3]
	s_cbranch_execz .LBB0_19
; %bb.18:
	ds_read_b64 v[71:72], v85 offset:1360
	ds_read_b64 v[69:70], v85 offset:2856
.LBB0_19:
	s_or_b64 exec, exec, s[8:9]
	s_waitcnt lgkmcnt(3)
	v_mul_f32_e32 v40, v66, v3
	v_fmac_f32_e32 v40, v65, v2
	v_mul_f32_e32 v2, v66, v2
	v_fma_f32 v3, v65, v3, -v2
	s_waitcnt lgkmcnt(2)
	v_mul_f32_e32 v41, v62, v37
	v_mul_f32_e32 v2, v62, v36
	v_fmac_f32_e32 v41, v61, v36
	v_fma_f32 v36, v61, v37, -v2
	v_mul_f32_e32 v37, v60, v39
	v_mul_f32_e32 v2, v60, v38
	v_fmac_f32_e32 v37, v59, v38
	v_fma_f32 v38, v59, v39, -v2
	s_waitcnt lgkmcnt(0)
	v_mul_f32_e32 v2, v58, v32
	v_mul_f32_e32 v39, v58, v33
	v_fma_f32 v42, v57, v33, -v2
	v_mul_f32_e32 v43, v64, v35
	v_mul_f32_e32 v2, v64, v34
	v_fmac_f32_e32 v39, v57, v32
	v_fmac_f32_e32 v43, v63, v34
	v_fma_f32 v44, v63, v35, -v2
	v_sub_f32_e32 v2, v24, v40
	v_sub_f32_e32 v3, v25, v3
	v_fma_f32 v24, v24, 2.0, -v2
	v_fma_f32 v25, v25, 2.0, -v3
	v_sub_f32_e32 v32, v26, v41
	v_sub_f32_e32 v33, v27, v36
	v_sub_f32_e32 v34, v28, v37
	v_sub_f32_e32 v35, v29, v38
	v_sub_f32_e32 v36, v30, v39
	v_sub_f32_e32 v37, v31, v42
	v_sub_f32_e32 v38, v0, v43
	v_sub_f32_e32 v39, v1, v44
	v_fma_f32 v26, v26, 2.0, -v32
	v_fma_f32 v27, v27, 2.0, -v33
	;; [unrolled: 1-line block ×8, first 2 shown]
	s_barrier
	ds_write2_b64 v88, v[24:25], v[2:3] offset1:17
	ds_write2_b64 v89, v[26:27], v[32:33] offset1:17
	;; [unrolled: 1-line block ×5, first 2 shown]
	s_and_saveexec_b64 s[8:9], s[2:3]
	s_cbranch_execz .LBB0_21
; %bb.20:
	v_mul_f32_e32 v0, v56, v69
	v_fma_f32 v0, v55, v70, -v0
	v_sub_f32_e32 v1, v72, v0
	v_mul_f32_e32 v0, v56, v70
	v_fmac_f32_e32 v0, v55, v69
	v_and_b32_e32 v24, 0xff, v87
	v_sub_f32_e32 v0, v71, v0
	v_lshl_add_u32 v24, v24, 3, v210
	v_fma_f32 v3, v72, 2.0, -v1
	v_fma_f32 v2, v71, 2.0, -v0
	v_add_u32_e32 v24, 0x800, v24
	ds_write2_b64 v24, v[2:3], v[0:1] offset0:84 offset1:101
.LBB0_21:
	s_or_b64 exec, exec, s[8:9]
	s_waitcnt lgkmcnt(0)
	s_barrier
	ds_read2_b64 v[0:3], v85 offset1:34
	ds_read2_b64 v[24:27], v85 offset0:68 offset1:102
	ds_read_b64 v[40:41], v85 offset:1088
	ds_read2_b64 v[28:31], v85 offset0:170 offset1:204
	v_add_u32_e32 v32, 0x400, v85
	s_waitcnt lgkmcnt(3)
	v_mul_f32_e32 v42, v17, v3
	v_fmac_f32_e32 v42, v16, v2
	v_mul_f32_e32 v2, v17, v2
	ds_read2_b64 v[32:35], v32 offset0:110 offset1:144
	v_fma_f32 v16, v16, v3, -v2
	s_waitcnt lgkmcnt(3)
	v_mul_f32_e32 v17, v19, v25
	v_mul_f32_e32 v2, v19, v24
	v_add_u32_e32 v36, 0x800, v85
	v_fmac_f32_e32 v17, v18, v24
	v_fma_f32 v18, v18, v25, -v2
	v_mul_f32_e32 v19, v13, v27
	v_mul_f32_e32 v2, v13, v26
	ds_read2_b64 v[36:39], v36 offset0:50 offset1:84
	v_fmac_f32_e32 v19, v12, v26
	v_fma_f32 v12, v12, v27, -v2
	s_waitcnt lgkmcnt(3)
	v_mul_f32_e32 v13, v15, v41
	v_mul_f32_e32 v2, v15, v40
	v_fmac_f32_e32 v13, v14, v40
	v_fma_f32 v14, v14, v41, -v2
	s_waitcnt lgkmcnt(2)
	v_mul_f32_e32 v15, v9, v29
	v_mul_f32_e32 v2, v9, v28
	v_fmac_f32_e32 v15, v8, v28
	v_fma_f32 v8, v8, v29, -v2
	v_mul_f32_e32 v9, v11, v31
	v_mul_f32_e32 v2, v11, v30
	v_fmac_f32_e32 v9, v10, v30
	v_fma_f32 v10, v10, v31, -v2
	s_waitcnt lgkmcnt(1)
	v_mul_f32_e32 v11, v5, v33
	v_mul_f32_e32 v2, v5, v32
	v_fmac_f32_e32 v11, v4, v32
	v_fma_f32 v4, v4, v33, -v2
	v_mul_f32_e32 v5, v7, v35
	v_mul_f32_e32 v2, v7, v34
	v_fmac_f32_e32 v5, v6, v34
	v_fma_f32 v6, v6, v35, -v2
	s_waitcnt lgkmcnt(0)
	v_mul_f32_e32 v7, v21, v37
	v_mul_f32_e32 v2, v21, v36
	v_add_f32_e32 v3, v1, v16
	v_fmac_f32_e32 v7, v20, v36
	v_fma_f32 v20, v20, v37, -v2
	v_mul_f32_e32 v21, v23, v39
	v_mul_f32_e32 v2, v23, v38
	v_add_f32_e32 v3, v3, v18
	v_fmac_f32_e32 v21, v22, v38
	v_fma_f32 v22, v22, v39, -v2
	v_add_f32_e32 v2, v0, v42
	v_add_f32_e32 v3, v3, v12
	;; [unrolled: 1-line block ×15, first 2 shown]
	v_sub_f32_e32 v16, v16, v22
	v_add_f32_e32 v2, v2, v5
	v_add_f32_e32 v3, v3, v22
	v_mul_f32_e32 v22, 0xbf0a6770, v16
	v_mul_f32_e32 v28, 0xbf68dda4, v16
	;; [unrolled: 1-line block ×5, first 2 shown]
	v_add_f32_e32 v2, v2, v7
	v_add_f32_e32 v23, v42, v21
	s_mov_b32 s8, 0x3f575c64
	v_mov_b32_e32 v25, v22
	v_mul_f32_e32 v26, 0x3f575c64, v24
	s_mov_b32 s2, 0x3ed4b147
	v_mov_b32_e32 v29, v28
	v_mul_f32_e32 v30, 0x3ed4b147, v24
	;; [unrolled: 3-line block ×5, first 2 shown]
	v_add_f32_e32 v2, v2, v21
	v_sub_f32_e32 v21, v42, v21
	v_fmac_f32_e32 v25, 0x3f575c64, v23
	v_mov_b32_e32 v27, v26
	v_fma_f32 v22, v23, s8, -v22
	v_fmac_f32_e32 v29, 0x3ed4b147, v23
	v_mov_b32_e32 v31, v30
	v_fma_f32 v28, v23, s2, -v28
	;; [unrolled: 3-line block ×5, first 2 shown]
	v_add_f32_e32 v25, v0, v25
	v_fmac_f32_e32 v27, 0x3f0a6770, v21
	v_add_f32_e32 v22, v0, v22
	v_fmac_f32_e32 v26, 0xbf0a6770, v21
	;; [unrolled: 2-line block ×10, first 2 shown]
	v_add_f32_e32 v16, v17, v7
	v_add_f32_e32 v21, v18, v20
	v_sub_f32_e32 v7, v17, v7
	v_sub_f32_e32 v17, v18, v20
	v_mul_f32_e32 v18, 0xbf68dda4, v17
	v_mul_f32_e32 v23, 0x3ed4b147, v21
	v_add_f32_e32 v27, v1, v27
	v_add_f32_e32 v26, v1, v26
	;; [unrolled: 1-line block ×10, first 2 shown]
	v_mov_b32_e32 v20, v18
	v_mov_b32_e32 v24, v23
	v_fma_f32 v18, v16, s2, -v18
	v_fmac_f32_e32 v23, 0xbf68dda4, v7
	v_fmac_f32_e32 v20, 0x3ed4b147, v16
	v_add_f32_e32 v18, v18, v22
	v_add_f32_e32 v22, v23, v26
	v_mul_f32_e32 v23, 0xbf4178ce, v17
	v_add_f32_e32 v20, v20, v25
	v_mov_b32_e32 v25, v23
	v_fma_f32 v23, v16, s9, -v23
	v_fmac_f32_e32 v25, 0xbf27a4f4, v16
	v_add_f32_e32 v23, v23, v28
	v_mul_f32_e32 v28, 0x3e903f40, v17
	v_add_f32_e32 v25, v25, v29
	v_mov_b32_e32 v29, v28
	v_fma_f32 v28, v16, s10, -v28
	v_fmac_f32_e32 v24, 0x3f68dda4, v7
	v_mul_f32_e32 v26, 0xbf27a4f4, v21
	v_fmac_f32_e32 v29, 0xbf75a155, v16
	v_add_f32_e32 v28, v28, v32
	v_mul_f32_e32 v32, 0x3f7d64f0, v17
	v_add_f32_e32 v24, v24, v27
	v_mov_b32_e32 v27, v26
	v_fmac_f32_e32 v26, 0xbf4178ce, v7
	v_add_f32_e32 v29, v29, v33
	v_mov_b32_e32 v33, v32
	v_fma_f32 v32, v16, s3, -v32
	v_mul_f32_e32 v17, 0x3f0a6770, v17
	v_fmac_f32_e32 v27, 0x3f4178ce, v7
	v_add_f32_e32 v26, v26, v30
	v_mul_f32_e32 v30, 0xbf75a155, v21
	v_add_f32_e32 v32, v32, v36
	v_mov_b32_e32 v36, v17
	v_add_f32_e32 v27, v27, v31
	v_mov_b32_e32 v31, v30
	v_fmac_f32_e32 v30, 0x3e903f40, v7
	v_fmac_f32_e32 v33, 0xbe11bafb, v16
	;; [unrolled: 1-line block ×3, first 2 shown]
	v_fma_f32 v16, v16, s8, -v17
	v_fmac_f32_e32 v31, 0xbe903f40, v7
	v_add_f32_e32 v30, v30, v34
	v_mul_f32_e32 v34, 0xbe11bafb, v21
	v_mul_f32_e32 v21, 0x3f575c64, v21
	v_add_f32_e32 v0, v16, v0
	v_add_f32_e32 v16, v12, v6
	v_sub_f32_e32 v6, v12, v6
	v_add_f32_e32 v31, v31, v35
	v_add_f32_e32 v33, v33, v37
	v_mov_b32_e32 v35, v34
	v_mov_b32_e32 v37, v21
	v_mul_f32_e32 v12, 0xbf7d64f0, v6
	v_fmac_f32_e32 v35, 0xbf7d64f0, v7
	v_fmac_f32_e32 v34, 0x3f7d64f0, v7
	;; [unrolled: 1-line block ×4, first 2 shown]
	v_add_f32_e32 v7, v19, v5
	v_mov_b32_e32 v17, v12
	v_sub_f32_e32 v5, v19, v5
	v_fmac_f32_e32 v17, 0xbe11bafb, v7
	v_mul_f32_e32 v19, 0xbe11bafb, v16
	v_add_f32_e32 v17, v17, v20
	v_mov_b32_e32 v20, v19
	v_fma_f32 v12, v7, s3, -v12
	v_fmac_f32_e32 v19, 0xbf7d64f0, v5
	v_add_f32_e32 v12, v12, v18
	v_add_f32_e32 v18, v19, v22
	v_mul_f32_e32 v19, 0x3e903f40, v6
	v_add_f32_e32 v1, v21, v1
	v_mov_b32_e32 v21, v19
	v_fma_f32 v19, v7, s10, -v19
	v_fmac_f32_e32 v20, 0x3f7d64f0, v5
	v_fmac_f32_e32 v21, 0xbf75a155, v7
	v_mul_f32_e32 v22, 0xbf75a155, v16
	v_add_f32_e32 v19, v19, v23
	v_mul_f32_e32 v23, 0x3f68dda4, v6
	v_add_f32_e32 v20, v20, v24
	v_add_f32_e32 v21, v21, v25
	v_mov_b32_e32 v24, v22
	v_fmac_f32_e32 v22, 0x3e903f40, v5
	v_mov_b32_e32 v25, v23
	v_fma_f32 v23, v7, s2, -v23
	v_fmac_f32_e32 v24, 0xbe903f40, v5
	v_add_f32_e32 v22, v22, v26
	v_fmac_f32_e32 v25, 0x3ed4b147, v7
	v_mul_f32_e32 v26, 0x3ed4b147, v16
	v_add_f32_e32 v23, v23, v28
	v_mul_f32_e32 v28, 0xbf0a6770, v6
	v_add_f32_e32 v24, v24, v27
	v_add_f32_e32 v25, v25, v29
	v_mov_b32_e32 v27, v26
	v_fmac_f32_e32 v26, 0x3f68dda4, v5
	v_mov_b32_e32 v29, v28
	v_fma_f32 v28, v7, s8, -v28
	v_mul_f32_e32 v6, 0xbf4178ce, v6
	v_fmac_f32_e32 v27, 0xbf68dda4, v5
	v_add_f32_e32 v26, v26, v30
	v_fmac_f32_e32 v29, 0x3f575c64, v7
	v_mul_f32_e32 v30, 0x3f575c64, v16
	v_add_f32_e32 v28, v28, v32
	v_mov_b32_e32 v32, v6
	v_mul_f32_e32 v16, 0xbf27a4f4, v16
	v_fma_f32 v6, v7, s9, -v6
	v_add_f32_e32 v27, v27, v31
	v_add_f32_e32 v29, v29, v33
	v_mov_b32_e32 v31, v30
	v_mov_b32_e32 v33, v16
	v_add_f32_e32 v0, v6, v0
	v_add_f32_e32 v6, v14, v4
	v_sub_f32_e32 v4, v14, v4
	v_fmac_f32_e32 v31, 0x3f0a6770, v5
	v_fmac_f32_e32 v30, 0xbf0a6770, v5
	;; [unrolled: 1-line block ×5, first 2 shown]
	v_add_f32_e32 v5, v13, v11
	v_sub_f32_e32 v7, v13, v11
	v_mul_f32_e32 v11, 0xbf4178ce, v4
	v_mul_f32_e32 v14, 0xbf27a4f4, v6
	v_add_f32_e32 v1, v16, v1
	v_mov_b32_e32 v13, v11
	v_mov_b32_e32 v16, v14
	v_fma_f32 v11, v5, s9, -v11
	v_fmac_f32_e32 v14, 0xbf4178ce, v7
	v_fmac_f32_e32 v13, 0xbf27a4f4, v5
	v_add_f32_e32 v11, v11, v12
	v_add_f32_e32 v12, v14, v18
	v_mul_f32_e32 v14, 0x3f7d64f0, v4
	v_add_f32_e32 v13, v13, v17
	v_mov_b32_e32 v17, v14
	v_fma_f32 v14, v5, s3, -v14
	v_fmac_f32_e32 v16, 0x3f4178ce, v7
	v_fmac_f32_e32 v17, 0xbe11bafb, v5
	v_mul_f32_e32 v18, 0xbe11bafb, v6
	v_add_f32_e32 v14, v14, v19
	v_mul_f32_e32 v19, 0xbf0a6770, v4
	v_add_f32_e32 v16, v16, v20
	v_add_f32_e32 v17, v17, v21
	v_mov_b32_e32 v20, v18
	v_fmac_f32_e32 v18, 0x3f7d64f0, v7
	v_mov_b32_e32 v21, v19
	v_fma_f32 v19, v5, s8, -v19
	v_fmac_f32_e32 v20, 0xbf7d64f0, v7
	v_add_f32_e32 v18, v18, v22
	v_fmac_f32_e32 v21, 0x3f575c64, v5
	v_mul_f32_e32 v22, 0x3f575c64, v6
	v_add_f32_e32 v19, v19, v23
	v_mul_f32_e32 v23, 0xbe903f40, v4
	v_add_f32_e32 v20, v20, v24
	v_add_f32_e32 v21, v21, v25
	v_mov_b32_e32 v24, v22
	v_fmac_f32_e32 v22, 0xbf0a6770, v7
	v_mov_b32_e32 v25, v23
	v_add_f32_e32 v22, v22, v26
	v_fmac_f32_e32 v25, 0xbf75a155, v5
	v_mul_f32_e32 v26, 0xbf75a155, v6
	v_mul_f32_e32 v6, 0x3ed4b147, v6
	v_add_f32_e32 v37, v37, v41
	v_add_f32_e32 v25, v25, v29
	v_mov_b32_e32 v29, v6
	v_add_f32_e32 v33, v33, v37
	v_fmac_f32_e32 v24, 0x3f0a6770, v7
	v_fma_f32 v23, v5, s10, -v23
	v_mul_f32_e32 v4, 0x3f68dda4, v4
	v_fmac_f32_e32 v29, 0xbf68dda4, v7
	v_add_f32_e32 v35, v35, v39
	v_add_f32_e32 v34, v34, v38
	;; [unrolled: 1-line block ×3, first 2 shown]
	v_mov_b32_e32 v27, v26
	v_add_f32_e32 v23, v23, v28
	v_mov_b32_e32 v28, v4
	v_add_f32_e32 v29, v29, v33
	v_add_f32_e32 v33, v8, v10
	;; [unrolled: 1-line block ×5, first 2 shown]
	v_fmac_f32_e32 v27, 0x3e903f40, v7
	v_fmac_f32_e32 v28, 0x3ed4b147, v5
	v_fma_f32 v4, v5, s2, -v4
	v_fmac_f32_e32 v6, 0x3f68dda4, v7
	v_sub_f32_e32 v34, v15, v9
	v_mul_f32_e32 v5, 0xbf75a155, v33
	v_add_f32_e32 v32, v32, v36
	v_add_f32_e32 v27, v27, v31
	v_fmac_f32_e32 v26, 0xbe903f40, v7
	v_add_f32_e32 v31, v6, v1
	v_sub_f32_e32 v35, v8, v10
	v_mov_b32_e32 v1, v5
	v_fmac_f32_e32 v5, 0xbe903f40, v34
	v_add_f32_e32 v26, v26, v30
	v_add_f32_e32 v28, v28, v32
	;; [unrolled: 1-line block ×4, first 2 shown]
	v_mul_f32_e32 v4, 0xbe903f40, v35
	v_add_f32_e32 v5, v5, v12
	v_mul_f32_e32 v8, 0x3f0a6770, v35
	v_mul_f32_e32 v9, 0x3f575c64, v33
	;; [unrolled: 1-line block ×3, first 2 shown]
	v_mov_b32_e32 v0, v4
	v_mov_b32_e32 v6, v8
	;; [unrolled: 1-line block ×4, first 2 shown]
	v_fmac_f32_e32 v0, 0xbf75a155, v32
	v_fmac_f32_e32 v1, 0x3e903f40, v34
	;; [unrolled: 1-line block ×5, first 2 shown]
	v_add_f32_e32 v0, v0, v13
	v_add_f32_e32 v1, v1, v16
	v_fma_f32 v4, v32, s10, -v4
	v_add_f32_e32 v6, v6, v17
	v_add_f32_e32 v7, v7, v20
	v_fma_f32 v8, v32, s8, -v8
	v_fmac_f32_e32 v9, 0x3f0a6770, v34
	v_add_f32_e32 v10, v10, v21
	v_mul_f32_e32 v13, 0xbf27a4f4, v33
	v_fma_f32 v12, v32, s9, -v12
	v_mul_f32_e32 v16, 0x3f68dda4, v35
	v_mul_f32_e32 v17, 0x3ed4b147, v33
	;; [unrolled: 1-line block ×4, first 2 shown]
	v_add_f32_e32 v4, v4, v11
	v_add_f32_e32 v8, v8, v14
	;; [unrolled: 1-line block ×3, first 2 shown]
	v_mov_b32_e32 v11, v13
	v_add_f32_e32 v12, v12, v19
	v_mov_b32_e32 v14, v16
	v_mov_b32_e32 v15, v17
	v_mov_b32_e32 v18, v20
	v_mov_b32_e32 v19, v21
	v_fmac_f32_e32 v11, 0x3f4178ce, v34
	v_fmac_f32_e32 v13, 0xbf4178ce, v34
	v_fmac_f32_e32 v14, 0x3ed4b147, v32
	v_fmac_f32_e32 v15, 0xbf68dda4, v34
	v_fma_f32 v16, v32, s2, -v16
	v_fmac_f32_e32 v17, 0x3f68dda4, v34
	v_fmac_f32_e32 v18, 0xbe11bafb, v32
	;; [unrolled: 1-line block ×3, first 2 shown]
	v_fma_f32 v20, v32, s3, -v20
	v_fmac_f32_e32 v21, 0xbf7d64f0, v34
	v_add_f32_e32 v11, v11, v24
	v_add_f32_e32 v13, v13, v22
	;; [unrolled: 1-line block ×10, first 2 shown]
	ds_write_b64 v86, v[2:3]
	ds_write2_b64 v86, v[0:1], v[6:7] offset0:34 offset1:68
	ds_write2_b64 v86, v[10:11], v[14:15] offset0:102 offset1:136
	;; [unrolled: 1-line block ×3, first 2 shown]
	v_add_u32_e32 v1, 0x400, v86
	v_add_u32_e32 v0, 0x800, v86
	ds_write2_b64 v1, v[16:17], v[12:13] offset0:110 offset1:144
	ds_write2_b64 v0, v[8:9], v[4:5] offset0:50 offset1:84
	s_waitcnt lgkmcnt(0)
	s_barrier
	s_and_b64 exec, exec, s[0:1]
	s_cbranch_execz .LBB0_23
; %bb.22:
	global_load_dwordx2 v[2:3], v82, s[12:13]
	ds_read_b64 v[6:7], v86
	v_mad_u64_u32 v[4:5], s[0:1], s6, v48, 0
	v_mad_u64_u32 v[8:9], s[0:1], s4, v81, 0
	s_waitcnt lgkmcnt(0)
	v_mad_u64_u32 v[10:11], s[2:3], s7, v48, v[5:6]
	s_mov_b32 s0, 0xb8d015e7
	s_mov_b32 s1, 0x3f65e75b
	v_mad_u64_u32 v[11:12], s[2:3], s5, v81, v[9:10]
	v_mov_b32_e32 v13, s15
	s_mul_i32 s3, s5, 0xb0
	v_mov_b32_e32 v9, v11
	v_lshlrev_b64 v[8:9], 3, v[8:9]
	s_mul_hi_u32 s6, s4, 0xb0
	s_mul_i32 s2, s4, 0xb0
	s_add_i32 s3, s6, s3
	s_waitcnt vmcnt(0)
	v_mul_f32_e32 v5, v7, v3
	v_mul_f32_e32 v3, v6, v3
	v_fmac_f32_e32 v5, v6, v2
	v_fma_f32 v6, v2, v7, -v3
	v_cvt_f64_f32_e32 v[2:3], v5
	v_cvt_f64_f32_e32 v[6:7], v6
	v_mov_b32_e32 v5, v10
	v_lshlrev_b64 v[4:5], 3, v[4:5]
	v_mul_f64 v[2:3], v[2:3], s[0:1]
	v_mul_f64 v[6:7], v[6:7], s[0:1]
	v_add_co_u32_e32 v10, vcc, s14, v4
	v_addc_co_u32_e32 v11, vcc, v13, v5, vcc
	v_cvt_f32_f64_e32 v2, v[2:3]
	v_cvt_f32_f64_e32 v3, v[6:7]
	v_add_co_u32_e32 v6, vcc, v10, v8
	v_addc_co_u32_e32 v7, vcc, v11, v9, vcc
	global_store_dwordx2 v[6:7], v[2:3], off
	global_load_dwordx2 v[8:9], v82, s[12:13] offset:176
	ds_read2_b64 v[2:5], v86 offset0:22 offset1:44
	v_add_co_u32_e32 v6, vcc, s2, v6
	s_waitcnt vmcnt(0) lgkmcnt(0)
	v_mul_f32_e32 v12, v3, v9
	v_mul_f32_e32 v9, v2, v9
	v_fmac_f32_e32 v12, v2, v8
	v_fma_f32 v8, v8, v3, -v9
	v_cvt_f64_f32_e32 v[2:3], v12
	v_cvt_f64_f32_e32 v[8:9], v8
	v_mov_b32_e32 v12, s3
	v_addc_co_u32_e32 v7, vcc, v7, v12, vcc
	v_mul_f64 v[2:3], v[2:3], s[0:1]
	v_mul_f64 v[8:9], v[8:9], s[0:1]
	v_cvt_f32_f64_e32 v2, v[2:3]
	v_cvt_f32_f64_e32 v3, v[8:9]
	global_store_dwordx2 v[6:7], v[2:3], off
	global_load_dwordx2 v[2:3], v82, s[12:13] offset:352
	v_add_co_u32_e32 v6, vcc, s2, v6
	s_waitcnt vmcnt(0)
	v_mul_f32_e32 v8, v5, v3
	v_mul_f32_e32 v3, v4, v3
	v_fmac_f32_e32 v8, v4, v2
	v_fma_f32 v4, v2, v5, -v3
	v_cvt_f64_f32_e32 v[2:3], v8
	v_cvt_f64_f32_e32 v[4:5], v4
	v_mov_b32_e32 v8, s3
	v_addc_co_u32_e32 v7, vcc, v7, v8, vcc
	v_mul_f64 v[2:3], v[2:3], s[0:1]
	v_mul_f64 v[4:5], v[4:5], s[0:1]
	v_cvt_f32_f64_e32 v2, v[2:3]
	v_cvt_f32_f64_e32 v3, v[4:5]
	global_store_dwordx2 v[6:7], v[2:3], off
	global_load_dwordx2 v[8:9], v82, s[12:13] offset:528
	ds_read2_b64 v[2:5], v86 offset0:66 offset1:88
	v_add_co_u32_e32 v6, vcc, s2, v6
	s_waitcnt vmcnt(0) lgkmcnt(0)
	v_mul_f32_e32 v12, v3, v9
	v_mul_f32_e32 v9, v2, v9
	v_fmac_f32_e32 v12, v2, v8
	v_fma_f32 v8, v8, v3, -v9
	v_cvt_f64_f32_e32 v[2:3], v12
	v_cvt_f64_f32_e32 v[8:9], v8
	v_mov_b32_e32 v12, s3
	v_addc_co_u32_e32 v7, vcc, v7, v12, vcc
	v_mul_f64 v[2:3], v[2:3], s[0:1]
	v_mul_f64 v[8:9], v[8:9], s[0:1]
	v_cvt_f32_f64_e32 v2, v[2:3]
	v_cvt_f32_f64_e32 v3, v[8:9]
	global_store_dwordx2 v[6:7], v[2:3], off
	global_load_dwordx2 v[2:3], v82, s[12:13] offset:704
	v_add_co_u32_e32 v6, vcc, s2, v6
	s_waitcnt vmcnt(0)
	v_mul_f32_e32 v8, v5, v3
	v_mul_f32_e32 v3, v4, v3
	v_fmac_f32_e32 v8, v4, v2
	v_fma_f32 v4, v2, v5, -v3
	v_cvt_f64_f32_e32 v[2:3], v8
	v_cvt_f64_f32_e32 v[4:5], v4
	v_mov_b32_e32 v8, s3
	v_addc_co_u32_e32 v7, vcc, v7, v8, vcc
	v_mul_f64 v[2:3], v[2:3], s[0:1]
	v_mul_f64 v[4:5], v[4:5], s[0:1]
	v_cvt_f32_f64_e32 v2, v[2:3]
	v_cvt_f32_f64_e32 v3, v[4:5]
	;; [unrolled: 33-line block ×4, first 2 shown]
	global_store_dwordx2 v[6:7], v[2:3], off
	global_load_dwordx2 v[8:9], v82, s[12:13] offset:1584
	ds_read2_b64 v[2:5], v86 offset0:198 offset1:220
	v_add_co_u32_e32 v6, vcc, s2, v6
	s_waitcnt vmcnt(0) lgkmcnt(0)
	v_mul_f32_e32 v12, v3, v9
	v_mul_f32_e32 v9, v2, v9
	v_fmac_f32_e32 v12, v2, v8
	v_fma_f32 v8, v8, v3, -v9
	v_cvt_f64_f32_e32 v[2:3], v12
	v_cvt_f64_f32_e32 v[8:9], v8
	v_mov_b32_e32 v12, s3
	v_addc_co_u32_e32 v7, vcc, v7, v12, vcc
	v_mul_f64 v[2:3], v[2:3], s[0:1]
	v_mul_f64 v[8:9], v[8:9], s[0:1]
	v_cvt_f32_f64_e32 v2, v[2:3]
	v_cvt_f32_f64_e32 v3, v[8:9]
	global_store_dwordx2 v[6:7], v[2:3], off
	global_load_dwordx2 v[2:3], v82, s[12:13] offset:1760
	s_waitcnt vmcnt(0)
	v_mul_f32_e32 v8, v5, v3
	v_mul_f32_e32 v3, v4, v3
	v_fmac_f32_e32 v8, v4, v2
	v_fma_f32 v4, v2, v5, -v3
	v_cvt_f64_f32_e32 v[2:3], v8
	v_cvt_f64_f32_e32 v[4:5], v4
	v_mov_b32_e32 v8, s3
	v_mul_f64 v[2:3], v[2:3], s[0:1]
	v_mul_f64 v[4:5], v[4:5], s[0:1]
	v_cvt_f32_f64_e32 v2, v[2:3]
	v_cvt_f32_f64_e32 v3, v[4:5]
	v_add_co_u32_e32 v5, vcc, s2, v6
	v_addc_co_u32_e32 v6, vcc, v7, v8, vcc
	global_store_dwordx2 v[5:6], v[2:3], off
	global_load_dwordx2 v[7:8], v82, s[12:13] offset:1936
	ds_read2_b64 v[1:4], v1 offset0:114 offset1:136
	v_add_co_u32_e32 v5, vcc, s2, v5
	s_waitcnt vmcnt(0) lgkmcnt(0)
	v_mul_f32_e32 v9, v2, v8
	v_mul_f32_e32 v8, v1, v8
	v_fmac_f32_e32 v9, v1, v7
	v_fma_f32 v7, v7, v2, -v8
	v_cvt_f64_f32_e32 v[1:2], v9
	v_cvt_f64_f32_e32 v[7:8], v7
	v_mov_b32_e32 v9, s3
	v_addc_co_u32_e32 v6, vcc, v6, v9, vcc
	v_mul_f64 v[1:2], v[1:2], s[0:1]
	v_mul_f64 v[7:8], v[7:8], s[0:1]
	v_cvt_f32_f64_e32 v1, v[1:2]
	v_cvt_f32_f64_e32 v2, v[7:8]
	global_store_dwordx2 v[5:6], v[1:2], off
	global_load_dwordx2 v[1:2], v82, s[12:13] offset:2112
	v_add_co_u32_e32 v5, vcc, s2, v5
	s_waitcnt vmcnt(0)
	v_mul_f32_e32 v7, v4, v2
	v_mul_f32_e32 v2, v3, v2
	v_fmac_f32_e32 v7, v3, v1
	v_fma_f32 v3, v1, v4, -v2
	v_cvt_f64_f32_e32 v[1:2], v7
	v_cvt_f64_f32_e32 v[3:4], v3
	v_mov_b32_e32 v7, s3
	v_addc_co_u32_e32 v6, vcc, v6, v7, vcc
	v_mul_f64 v[1:2], v[1:2], s[0:1]
	v_mul_f64 v[3:4], v[3:4], s[0:1]
	v_cvt_f32_f64_e32 v1, v[1:2]
	v_cvt_f32_f64_e32 v2, v[3:4]
	global_store_dwordx2 v[5:6], v[1:2], off
	global_load_dwordx2 v[7:8], v82, s[12:13] offset:2288
	ds_read2_b64 v[1:4], v0 offset0:30 offset1:52
	v_add_co_u32_e32 v5, vcc, s2, v5
	s_waitcnt vmcnt(0) lgkmcnt(0)
	v_mul_f32_e32 v9, v2, v8
	v_mul_f32_e32 v8, v1, v8
	v_fmac_f32_e32 v9, v1, v7
	v_fma_f32 v7, v7, v2, -v8
	v_cvt_f64_f32_e32 v[1:2], v9
	v_cvt_f64_f32_e32 v[7:8], v7
	v_mov_b32_e32 v9, s3
	v_addc_co_u32_e32 v6, vcc, v6, v9, vcc
	v_mul_f64 v[1:2], v[1:2], s[0:1]
	v_mul_f64 v[7:8], v[7:8], s[0:1]
	v_cvt_f32_f64_e32 v1, v[1:2]
	v_cvt_f32_f64_e32 v2, v[7:8]
	global_store_dwordx2 v[5:6], v[1:2], off
	global_load_dwordx2 v[1:2], v82, s[12:13] offset:2464
	s_waitcnt vmcnt(0)
	v_mul_f32_e32 v7, v4, v2
	v_mul_f32_e32 v2, v3, v2
	v_fmac_f32_e32 v7, v3, v1
	v_fma_f32 v3, v1, v4, -v2
	v_cvt_f64_f32_e32 v[1:2], v7
	v_cvt_f64_f32_e32 v[3:4], v3
	v_mov_b32_e32 v7, s3
	v_mul_f64 v[1:2], v[1:2], s[0:1]
	v_mul_f64 v[3:4], v[3:4], s[0:1]
	v_cvt_f32_f64_e32 v1, v[1:2]
	v_cvt_f32_f64_e32 v2, v[3:4]
	v_add_co_u32_e32 v4, vcc, s2, v5
	v_addc_co_u32_e32 v5, vcc, v6, v7, vcc
	global_store_dwordx2 v[4:5], v[1:2], off
	global_load_dwordx2 v[6:7], v82, s[12:13] offset:2640
	ds_read2_b64 v[0:3], v0 offset0:74 offset1:96
	v_add_co_u32_e32 v4, vcc, s2, v4
	s_waitcnt vmcnt(0) lgkmcnt(0)
	v_mul_f32_e32 v8, v1, v7
	v_mul_f32_e32 v7, v0, v7
	v_fmac_f32_e32 v8, v0, v6
	v_fma_f32 v6, v6, v1, -v7
	v_cvt_f64_f32_e32 v[0:1], v8
	v_cvt_f64_f32_e32 v[6:7], v6
	v_mov_b32_e32 v8, s3
	v_addc_co_u32_e32 v5, vcc, v5, v8, vcc
	v_mul_f64 v[0:1], v[0:1], s[0:1]
	v_mul_f64 v[6:7], v[6:7], s[0:1]
	v_cvt_f32_f64_e32 v0, v[0:1]
	v_cvt_f32_f64_e32 v1, v[6:7]
	v_or_b32_e32 v6, 0x160, v81
	global_store_dwordx2 v[4:5], v[0:1], off
	global_load_dwordx2 v[0:1], v82, s[12:13] offset:2816
	v_mad_u64_u32 v[4:5], s[2:3], s4, v6, 0
	s_waitcnt vmcnt(0)
	v_mul_f32_e32 v7, v3, v1
	v_mul_f32_e32 v1, v2, v1
	v_fmac_f32_e32 v7, v2, v0
	v_fma_f32 v2, v0, v3, -v1
	v_cvt_f64_f32_e32 v[0:1], v7
	v_cvt_f64_f32_e32 v[2:3], v2
	v_mul_f64 v[0:1], v[0:1], s[0:1]
	v_mul_f64 v[2:3], v[2:3], s[0:1]
	v_mad_u64_u32 v[5:6], s[0:1], s5, v6, v[5:6]
	v_lshlrev_b64 v[4:5], 3, v[4:5]
	v_cvt_f32_f64_e32 v0, v[0:1]
	v_cvt_f32_f64_e32 v1, v[2:3]
	v_add_co_u32_e32 v2, vcc, v10, v4
	v_addc_co_u32_e32 v3, vcc, v11, v5, vcc
	global_store_dwordx2 v[2:3], v[0:1], off
.LBB0_23:
	s_endpgm
	.section	.rodata,"a",@progbits
	.p2align	6, 0x0
	.amdhsa_kernel bluestein_single_back_len374_dim1_sp_op_CI_CI
		.amdhsa_group_segment_fixed_size 20944
		.amdhsa_private_segment_fixed_size 0
		.amdhsa_kernarg_size 104
		.amdhsa_user_sgpr_count 6
		.amdhsa_user_sgpr_private_segment_buffer 1
		.amdhsa_user_sgpr_dispatch_ptr 0
		.amdhsa_user_sgpr_queue_ptr 0
		.amdhsa_user_sgpr_kernarg_segment_ptr 1
		.amdhsa_user_sgpr_dispatch_id 0
		.amdhsa_user_sgpr_flat_scratch_init 0
		.amdhsa_user_sgpr_private_segment_size 0
		.amdhsa_uses_dynamic_stack 0
		.amdhsa_system_sgpr_private_segment_wavefront_offset 0
		.amdhsa_system_sgpr_workgroup_id_x 1
		.amdhsa_system_sgpr_workgroup_id_y 0
		.amdhsa_system_sgpr_workgroup_id_z 0
		.amdhsa_system_sgpr_workgroup_info 0
		.amdhsa_system_vgpr_workitem_id 0
		.amdhsa_next_free_vgpr 256
		.amdhsa_next_free_sgpr 22
		.amdhsa_reserve_vcc 1
		.amdhsa_reserve_flat_scratch 0
		.amdhsa_float_round_mode_32 0
		.amdhsa_float_round_mode_16_64 0
		.amdhsa_float_denorm_mode_32 3
		.amdhsa_float_denorm_mode_16_64 3
		.amdhsa_dx10_clamp 1
		.amdhsa_ieee_mode 1
		.amdhsa_fp16_overflow 0
		.amdhsa_exception_fp_ieee_invalid_op 0
		.amdhsa_exception_fp_denorm_src 0
		.amdhsa_exception_fp_ieee_div_zero 0
		.amdhsa_exception_fp_ieee_overflow 0
		.amdhsa_exception_fp_ieee_underflow 0
		.amdhsa_exception_fp_ieee_inexact 0
		.amdhsa_exception_int_div_zero 0
	.end_amdhsa_kernel
	.text
.Lfunc_end0:
	.size	bluestein_single_back_len374_dim1_sp_op_CI_CI, .Lfunc_end0-bluestein_single_back_len374_dim1_sp_op_CI_CI
                                        ; -- End function
	.section	.AMDGPU.csdata,"",@progbits
; Kernel info:
; codeLenInByte = 20252
; NumSgprs: 26
; NumVgprs: 256
; ScratchSize: 0
; MemoryBound: 0
; FloatMode: 240
; IeeeMode: 1
; LDSByteSize: 20944 bytes/workgroup (compile time only)
; SGPRBlocks: 3
; VGPRBlocks: 63
; NumSGPRsForWavesPerEU: 26
; NumVGPRsForWavesPerEU: 256
; Occupancy: 1
; WaveLimiterHint : 1
; COMPUTE_PGM_RSRC2:SCRATCH_EN: 0
; COMPUTE_PGM_RSRC2:USER_SGPR: 6
; COMPUTE_PGM_RSRC2:TRAP_HANDLER: 0
; COMPUTE_PGM_RSRC2:TGID_X_EN: 1
; COMPUTE_PGM_RSRC2:TGID_Y_EN: 0
; COMPUTE_PGM_RSRC2:TGID_Z_EN: 0
; COMPUTE_PGM_RSRC2:TIDIG_COMP_CNT: 0
	.type	__hip_cuid_b2c09e530f8e5c76,@object ; @__hip_cuid_b2c09e530f8e5c76
	.section	.bss,"aw",@nobits
	.globl	__hip_cuid_b2c09e530f8e5c76
__hip_cuid_b2c09e530f8e5c76:
	.byte	0                               ; 0x0
	.size	__hip_cuid_b2c09e530f8e5c76, 1

	.ident	"AMD clang version 19.0.0git (https://github.com/RadeonOpenCompute/llvm-project roc-6.4.0 25133 c7fe45cf4b819c5991fe208aaa96edf142730f1d)"
	.section	".note.GNU-stack","",@progbits
	.addrsig
	.addrsig_sym __hip_cuid_b2c09e530f8e5c76
	.amdgpu_metadata
---
amdhsa.kernels:
  - .args:
      - .actual_access:  read_only
        .address_space:  global
        .offset:         0
        .size:           8
        .value_kind:     global_buffer
      - .actual_access:  read_only
        .address_space:  global
        .offset:         8
        .size:           8
        .value_kind:     global_buffer
      - .actual_access:  read_only
        .address_space:  global
        .offset:         16
        .size:           8
        .value_kind:     global_buffer
      - .actual_access:  read_only
        .address_space:  global
        .offset:         24
        .size:           8
        .value_kind:     global_buffer
      - .actual_access:  read_only
        .address_space:  global
        .offset:         32
        .size:           8
        .value_kind:     global_buffer
      - .offset:         40
        .size:           8
        .value_kind:     by_value
      - .address_space:  global
        .offset:         48
        .size:           8
        .value_kind:     global_buffer
      - .address_space:  global
        .offset:         56
        .size:           8
        .value_kind:     global_buffer
      - .address_space:  global
        .offset:         64
        .size:           8
        .value_kind:     global_buffer
      - .address_space:  global
        .offset:         72
        .size:           8
        .value_kind:     global_buffer
      - .offset:         80
        .size:           4
        .value_kind:     by_value
      - .address_space:  global
        .offset:         88
        .size:           8
        .value_kind:     global_buffer
      - .address_space:  global
        .offset:         96
        .size:           8
        .value_kind:     global_buffer
    .group_segment_fixed_size: 20944
    .kernarg_segment_align: 8
    .kernarg_segment_size: 104
    .language:       OpenCL C
    .language_version:
      - 2
      - 0
    .max_flat_workgroup_size: 238
    .name:           bluestein_single_back_len374_dim1_sp_op_CI_CI
    .private_segment_fixed_size: 0
    .sgpr_count:     26
    .sgpr_spill_count: 0
    .symbol:         bluestein_single_back_len374_dim1_sp_op_CI_CI.kd
    .uniform_work_group_size: 1
    .uses_dynamic_stack: false
    .vgpr_count:     256
    .vgpr_spill_count: 0
    .wavefront_size: 64
amdhsa.target:   amdgcn-amd-amdhsa--gfx906
amdhsa.version:
  - 1
  - 2
...

	.end_amdgpu_metadata
